;; amdgpu-corpus repo=ROCm/rocFFT kind=compiled arch=gfx906 opt=O3
	.text
	.amdgcn_target "amdgcn-amd-amdhsa--gfx906"
	.amdhsa_code_object_version 6
	.protected	fft_rtc_back_len1764_factors_2_2_3_3_7_7_wgs_126_tpt_126_halfLds_half_op_CI_CI_unitstride_sbrr_R2C_dirReg ; -- Begin function fft_rtc_back_len1764_factors_2_2_3_3_7_7_wgs_126_tpt_126_halfLds_half_op_CI_CI_unitstride_sbrr_R2C_dirReg
	.globl	fft_rtc_back_len1764_factors_2_2_3_3_7_7_wgs_126_tpt_126_halfLds_half_op_CI_CI_unitstride_sbrr_R2C_dirReg
	.p2align	8
	.type	fft_rtc_back_len1764_factors_2_2_3_3_7_7_wgs_126_tpt_126_halfLds_half_op_CI_CI_unitstride_sbrr_R2C_dirReg,@function
fft_rtc_back_len1764_factors_2_2_3_3_7_7_wgs_126_tpt_126_halfLds_half_op_CI_CI_unitstride_sbrr_R2C_dirReg: ; @fft_rtc_back_len1764_factors_2_2_3_3_7_7_wgs_126_tpt_126_halfLds_half_op_CI_CI_unitstride_sbrr_R2C_dirReg
; %bb.0:
	s_load_dwordx4 s[8:11], s[4:5], 0x58
	s_load_dwordx4 s[12:15], s[4:5], 0x0
	;; [unrolled: 1-line block ×3, first 2 shown]
	v_mul_u32_u24_e32 v1, 0x209, v0
	v_mov_b32_e32 v3, 0
	v_mov_b32_e32 v16, 0
	s_waitcnt lgkmcnt(0)
	v_cmp_lt_u64_e64 s[0:1], s[14:15], 2
	v_add_u32_sdwa v7, s6, v1 dst_sel:DWORD dst_unused:UNUSED_PAD src0_sel:DWORD src1_sel:WORD_1
	v_mov_b32_e32 v8, v3
	s_and_b64 vcc, exec, s[0:1]
	v_mov_b32_e32 v17, 0
	s_cbranch_vccnz .LBB0_8
; %bb.1:
	s_load_dwordx2 s[0:1], s[4:5], 0x10
	s_add_u32 s2, s18, 8
	s_addc_u32 s3, s19, 0
	s_add_u32 s6, s16, 8
	s_addc_u32 s7, s17, 0
	v_mov_b32_e32 v16, 0
	s_waitcnt lgkmcnt(0)
	s_add_u32 s20, s0, 8
	v_mov_b32_e32 v17, 0
	v_mov_b32_e32 v1, v16
	s_addc_u32 s21, s1, 0
	s_mov_b64 s[22:23], 1
	v_mov_b32_e32 v2, v17
.LBB0_2:                                ; =>This Inner Loop Header: Depth=1
	s_load_dwordx2 s[24:25], s[20:21], 0x0
                                        ; implicit-def: $vgpr5_vgpr6
	s_waitcnt lgkmcnt(0)
	v_or_b32_e32 v4, s25, v8
	v_cmp_ne_u64_e32 vcc, 0, v[3:4]
	s_and_saveexec_b64 s[0:1], vcc
	s_xor_b64 s[26:27], exec, s[0:1]
	s_cbranch_execz .LBB0_4
; %bb.3:                                ;   in Loop: Header=BB0_2 Depth=1
	v_cvt_f32_u32_e32 v4, s24
	v_cvt_f32_u32_e32 v5, s25
	s_sub_u32 s0, 0, s24
	s_subb_u32 s1, 0, s25
	v_mac_f32_e32 v4, 0x4f800000, v5
	v_rcp_f32_e32 v4, v4
	v_mul_f32_e32 v4, 0x5f7ffffc, v4
	v_mul_f32_e32 v5, 0x2f800000, v4
	v_trunc_f32_e32 v5, v5
	v_mac_f32_e32 v4, 0xcf800000, v5
	v_cvt_u32_f32_e32 v5, v5
	v_cvt_u32_f32_e32 v4, v4
	v_mul_lo_u32 v6, s0, v5
	v_mul_hi_u32 v9, s0, v4
	v_mul_lo_u32 v11, s1, v4
	v_mul_lo_u32 v10, s0, v4
	v_add_u32_e32 v6, v9, v6
	v_add_u32_e32 v6, v6, v11
	v_mul_hi_u32 v9, v4, v10
	v_mul_lo_u32 v11, v4, v6
	v_mul_hi_u32 v13, v4, v6
	v_mul_hi_u32 v12, v5, v10
	v_mul_lo_u32 v10, v5, v10
	v_mul_hi_u32 v14, v5, v6
	v_add_co_u32_e32 v9, vcc, v9, v11
	v_addc_co_u32_e32 v11, vcc, 0, v13, vcc
	v_mul_lo_u32 v6, v5, v6
	v_add_co_u32_e32 v9, vcc, v9, v10
	v_addc_co_u32_e32 v9, vcc, v11, v12, vcc
	v_addc_co_u32_e32 v10, vcc, 0, v14, vcc
	v_add_co_u32_e32 v6, vcc, v9, v6
	v_addc_co_u32_e32 v9, vcc, 0, v10, vcc
	v_add_co_u32_e32 v4, vcc, v4, v6
	v_addc_co_u32_e32 v5, vcc, v5, v9, vcc
	v_mul_lo_u32 v6, s0, v5
	v_mul_hi_u32 v9, s0, v4
	v_mul_lo_u32 v10, s1, v4
	v_mul_lo_u32 v11, s0, v4
	v_add_u32_e32 v6, v9, v6
	v_add_u32_e32 v6, v6, v10
	v_mul_lo_u32 v12, v4, v6
	v_mul_hi_u32 v13, v4, v11
	v_mul_hi_u32 v14, v4, v6
	v_mul_hi_u32 v10, v5, v11
	v_mul_lo_u32 v11, v5, v11
	v_mul_hi_u32 v9, v5, v6
	v_add_co_u32_e32 v12, vcc, v13, v12
	v_addc_co_u32_e32 v13, vcc, 0, v14, vcc
	v_mul_lo_u32 v6, v5, v6
	v_add_co_u32_e32 v11, vcc, v12, v11
	v_addc_co_u32_e32 v10, vcc, v13, v10, vcc
	v_addc_co_u32_e32 v9, vcc, 0, v9, vcc
	v_add_co_u32_e32 v6, vcc, v10, v6
	v_addc_co_u32_e32 v9, vcc, 0, v9, vcc
	v_add_co_u32_e32 v6, vcc, v4, v6
	v_addc_co_u32_e32 v9, vcc, v5, v9, vcc
	v_mad_u64_u32 v[4:5], s[0:1], v7, v9, 0
	v_mul_hi_u32 v10, v7, v6
	v_add_co_u32_e32 v11, vcc, v10, v4
	v_addc_co_u32_e32 v12, vcc, 0, v5, vcc
	v_mad_u64_u32 v[4:5], s[0:1], v8, v6, 0
	v_mad_u64_u32 v[9:10], s[0:1], v8, v9, 0
	v_add_co_u32_e32 v4, vcc, v11, v4
	v_addc_co_u32_e32 v4, vcc, v12, v5, vcc
	v_addc_co_u32_e32 v5, vcc, 0, v10, vcc
	v_add_co_u32_e32 v9, vcc, v4, v9
	v_addc_co_u32_e32 v6, vcc, 0, v5, vcc
	v_mul_lo_u32 v10, s25, v9
	v_mul_lo_u32 v11, s24, v6
	v_mad_u64_u32 v[4:5], s[0:1], s24, v9, 0
	v_add3_u32 v5, v5, v11, v10
	v_sub_u32_e32 v10, v8, v5
	v_mov_b32_e32 v11, s25
	v_sub_co_u32_e32 v4, vcc, v7, v4
	v_subb_co_u32_e64 v10, s[0:1], v10, v11, vcc
	v_subrev_co_u32_e64 v11, s[0:1], s24, v4
	v_subbrev_co_u32_e64 v10, s[0:1], 0, v10, s[0:1]
	v_cmp_le_u32_e64 s[0:1], s25, v10
	v_cndmask_b32_e64 v12, 0, -1, s[0:1]
	v_cmp_le_u32_e64 s[0:1], s24, v11
	v_cndmask_b32_e64 v11, 0, -1, s[0:1]
	v_cmp_eq_u32_e64 s[0:1], s25, v10
	v_cndmask_b32_e64 v10, v12, v11, s[0:1]
	v_add_co_u32_e64 v11, s[0:1], 2, v9
	v_addc_co_u32_e64 v12, s[0:1], 0, v6, s[0:1]
	v_add_co_u32_e64 v13, s[0:1], 1, v9
	v_addc_co_u32_e64 v14, s[0:1], 0, v6, s[0:1]
	v_subb_co_u32_e32 v5, vcc, v8, v5, vcc
	v_cmp_ne_u32_e64 s[0:1], 0, v10
	v_cmp_le_u32_e32 vcc, s25, v5
	v_cndmask_b32_e64 v10, v14, v12, s[0:1]
	v_cndmask_b32_e64 v12, 0, -1, vcc
	v_cmp_le_u32_e32 vcc, s24, v4
	v_cndmask_b32_e64 v4, 0, -1, vcc
	v_cmp_eq_u32_e32 vcc, s25, v5
	v_cndmask_b32_e32 v4, v12, v4, vcc
	v_cmp_ne_u32_e32 vcc, 0, v4
	v_cndmask_b32_e64 v4, v13, v11, s[0:1]
	v_cndmask_b32_e32 v6, v6, v10, vcc
	v_cndmask_b32_e32 v5, v9, v4, vcc
.LBB0_4:                                ;   in Loop: Header=BB0_2 Depth=1
	s_andn2_saveexec_b64 s[0:1], s[26:27]
	s_cbranch_execz .LBB0_6
; %bb.5:                                ;   in Loop: Header=BB0_2 Depth=1
	v_cvt_f32_u32_e32 v4, s24
	s_sub_i32 s26, 0, s24
	v_rcp_iflag_f32_e32 v4, v4
	v_mul_f32_e32 v4, 0x4f7ffffe, v4
	v_cvt_u32_f32_e32 v4, v4
	v_mul_lo_u32 v5, s26, v4
	v_mul_hi_u32 v5, v4, v5
	v_add_u32_e32 v4, v4, v5
	v_mul_hi_u32 v4, v7, v4
	v_mul_lo_u32 v5, v4, s24
	v_add_u32_e32 v6, 1, v4
	v_sub_u32_e32 v5, v7, v5
	v_subrev_u32_e32 v9, s24, v5
	v_cmp_le_u32_e32 vcc, s24, v5
	v_cndmask_b32_e32 v5, v5, v9, vcc
	v_cndmask_b32_e32 v4, v4, v6, vcc
	v_add_u32_e32 v6, 1, v4
	v_cmp_le_u32_e32 vcc, s24, v5
	v_cndmask_b32_e32 v5, v4, v6, vcc
	v_mov_b32_e32 v6, v3
.LBB0_6:                                ;   in Loop: Header=BB0_2 Depth=1
	s_or_b64 exec, exec, s[0:1]
	v_mul_lo_u32 v4, v6, s24
	v_mul_lo_u32 v11, v5, s25
	v_mad_u64_u32 v[9:10], s[0:1], v5, s24, 0
	s_load_dwordx2 s[0:1], s[6:7], 0x0
	s_load_dwordx2 s[24:25], s[2:3], 0x0
	v_add3_u32 v4, v10, v11, v4
	v_sub_co_u32_e32 v7, vcc, v7, v9
	v_subb_co_u32_e32 v4, vcc, v8, v4, vcc
	s_waitcnt lgkmcnt(0)
	v_mul_lo_u32 v8, s0, v4
	v_mul_lo_u32 v9, s1, v7
	v_mad_u64_u32 v[16:17], s[0:1], s0, v7, v[16:17]
	s_add_u32 s22, s22, 1
	s_addc_u32 s23, s23, 0
	s_add_u32 s2, s2, 8
	v_mul_lo_u32 v4, s24, v4
	v_mul_lo_u32 v10, s25, v7
	v_mad_u64_u32 v[1:2], s[0:1], s24, v7, v[1:2]
	v_add3_u32 v17, v9, v17, v8
	s_addc_u32 s3, s3, 0
	v_mov_b32_e32 v7, s14
	s_add_u32 s6, s6, 8
	v_mov_b32_e32 v8, s15
	s_addc_u32 s7, s7, 0
	v_cmp_ge_u64_e32 vcc, s[22:23], v[7:8]
	s_add_u32 s20, s20, 8
	v_add3_u32 v2, v10, v2, v4
	s_addc_u32 s21, s21, 0
	s_cbranch_vccnz .LBB0_9
; %bb.7:                                ;   in Loop: Header=BB0_2 Depth=1
	v_mov_b32_e32 v8, v6
	v_mov_b32_e32 v7, v5
	s_branch .LBB0_2
.LBB0_8:
	v_mov_b32_e32 v1, v16
	v_mov_b32_e32 v5, v7
	;; [unrolled: 1-line block ×4, first 2 shown]
.LBB0_9:
	s_load_dwordx2 s[4:5], s[4:5], 0x28
	s_lshl_b64 s[6:7], s[14:15], 3
	s_add_u32 s2, s18, s6
	s_addc_u32 s3, s19, s7
                                        ; implicit-def: $vgpr3
                                        ; implicit-def: $vgpr7
                                        ; implicit-def: $vgpr15
                                        ; implicit-def: $vgpr14
                                        ; implicit-def: $vgpr9
                                        ; implicit-def: $vgpr11
                                        ; implicit-def: $vgpr13
	s_waitcnt lgkmcnt(0)
	v_cmp_gt_u64_e64 s[0:1], s[4:5], v[5:6]
	v_cmp_le_u64_e32 vcc, s[4:5], v[5:6]
	s_and_saveexec_b64 s[4:5], vcc
	s_xor_b64 s[4:5], exec, s[4:5]
; %bb.10:
	s_mov_b32 s14, 0x2082083
	v_mul_hi_u32 v3, v0, s14
                                        ; implicit-def: $vgpr16_vgpr17
	v_mul_u32_u24_e32 v3, 0x7e, v3
	v_sub_u32_e32 v3, v0, v3
	v_add_u32_e32 v7, 0x7e, v3
	v_add_u32_e32 v15, 0xfc, v3
	;; [unrolled: 1-line block ×6, first 2 shown]
                                        ; implicit-def: $vgpr0
; %bb.11:
	s_andn2_saveexec_b64 s[4:5], s[4:5]
	s_cbranch_execz .LBB0_13
; %bb.12:
	s_add_u32 s6, s16, s6
	s_addc_u32 s7, s17, s7
	s_load_dwordx2 s[6:7], s[6:7], 0x0
	s_mov_b32 s14, 0x2082083
	v_mul_hi_u32 v3, v0, s14
	s_waitcnt lgkmcnt(0)
	v_mul_lo_u32 v4, s7, v5
	v_mul_lo_u32 v9, s6, v6
	v_mad_u64_u32 v[7:8], s[6:7], s6, v5, 0
	v_mul_u32_u24_e32 v3, 0x7e, v3
	v_sub_u32_e32 v3, v0, v3
	v_add3_u32 v8, v8, v9, v4
	v_lshlrev_b64 v[7:8], 2, v[7:8]
	v_mov_b32_e32 v0, s9
	v_add_co_u32_e32 v4, vcc, s8, v7
	v_addc_co_u32_e32 v0, vcc, v0, v8, vcc
	v_lshlrev_b64 v[7:8], 2, v[16:17]
	v_lshlrev_b32_e32 v12, 2, v3
	v_add_co_u32_e32 v4, vcc, v4, v7
	v_addc_co_u32_e32 v0, vcc, v0, v8, vcc
	v_add_co_u32_e32 v7, vcc, v4, v12
	v_addc_co_u32_e32 v8, vcc, 0, v0, vcc
	v_add_co_u32_e32 v9, vcc, 0x1000, v7
	global_load_dword v0, v[7:8], off
	global_load_dword v4, v[7:8], off offset:504
	global_load_dword v16, v[7:8], off offset:1008
	;; [unrolled: 1-line block ×7, first 2 shown]
	v_addc_co_u32_e32 v10, vcc, 0, v8, vcc
	global_load_dword v22, v[7:8], off offset:4032
	global_load_dword v23, v[9:10], off offset:440
	;; [unrolled: 1-line block ×6, first 2 shown]
	v_add_u32_e32 v8, 0, v12
	v_add_u32_e32 v7, 0x7e, v3
	;; [unrolled: 1-line block ×13, first 2 shown]
	s_waitcnt vmcnt(10)
	ds_write2_b32 v10, v16, v17 offset0:124 offset1:250
	s_waitcnt vmcnt(8)
	ds_write2_b32 v12, v18, v19 offset0:120 offset1:246
	ds_write2_b32 v8, v0, v4 offset1:126
	s_waitcnt vmcnt(6)
	ds_write2_b32 v28, v20, v21 offset0:116 offset1:242
	s_waitcnt vmcnt(4)
	ds_write2_b32 v29, v22, v23 offset0:112 offset1:238
	;; [unrolled: 2-line block ×4, first 2 shown]
.LBB0_13:
	s_or_b64 exec, exec, s[4:5]
	v_lshlrev_b32_e32 v4, 2, v3
	v_add_u32_e32 v10, 0, v4
	v_add_u32_e32 v0, 0xa00, v10
	s_load_dwordx2 s[2:3], s[2:3], 0x0
	s_waitcnt lgkmcnt(0)
	s_barrier
	ds_read2_b32 v[16:17], v0 offset0:116 offset1:242
	v_add_u32_e32 v0, 0x600, v10
	ds_read2_b32 v[20:21], v0 offset0:120 offset1:246
	v_add_u32_e32 v0, 0x200, v10
	v_add_u32_e32 v34, 0x1600, v10
	ds_read2_b32 v[22:23], v0 offset0:124 offset1:250
	v_add_u32_e32 v0, 0xe00, v10
	ds_read2_b32 v[18:19], v34 offset0:104 offset1:230
	;; [unrolled: 2-line block ×3, first 2 shown]
	ds_read2_b32 v[29:30], v37 offset0:108 offset1:234
	ds_read2_b32 v[26:27], v10 offset1:126
	v_add_u32_e32 v0, v10, v4
	s_waitcnt lgkmcnt(0)
	s_barrier
	v_pk_add_f16 v8, v26, v17 neg_lo:[0,1] neg_hi:[0,1]
	v_pk_fma_f16 v12, v26, 2.0, v8 op_sel_hi:[1,0,1] neg_lo:[0,0,1] neg_hi:[0,0,1]
	ds_write2_b32 v0, v12, v8 offset1:1
	v_pk_add_f16 v0, v27, v24 neg_lo:[0,1] neg_hi:[0,1]
	v_pk_fma_f16 v8, v27, 2.0, v0 op_sel_hi:[1,0,1] neg_lo:[0,0,1] neg_hi:[0,0,1]
	v_lshl_add_u32 v26, v7, 3, 0
	ds_write2_b32 v26, v8, v0 offset1:1
	v_pk_add_f16 v0, v22, v25 neg_lo:[0,1] neg_hi:[0,1]
	v_lshl_add_u32 v28, v15, 3, 0
	v_pk_fma_f16 v8, v22, 2.0, v0 op_sel_hi:[1,0,1] neg_lo:[0,0,1] neg_hi:[0,0,1]
	ds_write2_b32 v28, v8, v0 offset1:1
	v_pk_add_f16 v0, v23, v29 neg_lo:[0,1] neg_hi:[0,1]
	v_pk_fma_f16 v8, v23, 2.0, v0 op_sel_hi:[1,0,1] neg_lo:[0,0,1] neg_hi:[0,0,1]
	v_lshl_add_u32 v25, v14, 3, 0
	ds_write2_b32 v25, v8, v0 offset1:1
	v_pk_add_f16 v0, v20, v30 neg_lo:[0,1] neg_hi:[0,1]
	v_lshl_add_u32 v22, v9, 3, 0
	v_pk_fma_f16 v8, v20, 2.0, v0 op_sel_hi:[1,0,1] neg_lo:[0,0,1] neg_hi:[0,0,1]
	v_pk_add_f16 v17, v21, v18 neg_lo:[0,1] neg_hi:[0,1]
	ds_write2_b32 v22, v8, v0 offset1:1
	v_pk_add_f16 v8, v16, v19 neg_lo:[0,1] neg_hi:[0,1]
	v_lshl_add_u32 v0, v11, 3, 0
	v_pk_fma_f16 v18, v21, 2.0, v17 op_sel_hi:[1,0,1] neg_lo:[0,0,1] neg_hi:[0,0,1]
	v_and_b32_e32 v23, 1, v3
	v_pk_fma_f16 v16, v16, 2.0, v8 op_sel_hi:[1,0,1] neg_lo:[0,0,1] neg_hi:[0,0,1]
	v_lshl_add_u32 v12, v13, 3, 0
	ds_write2_b32 v0, v18, v17 offset1:1
	ds_write2_b32 v12, v16, v8 offset1:1
	v_lshlrev_b32_e32 v8, 2, v23
	s_waitcnt lgkmcnt(0)
	s_barrier
	global_load_dword v24, v8, s[12:13]
	s_movk_i32 s5, 0xfc
	v_lshlrev_b32_e32 v16, 1, v3
	v_lshlrev_b32_e32 v30, 2, v9
	;; [unrolled: 1-line block ×7, first 2 shown]
	v_and_or_b32 v16, v16, s5, v23
	v_sub_u32_e32 v18, v22, v30
	v_sub_u32_e32 v19, v0, v8
	;; [unrolled: 1-line block ×3, first 2 shown]
	v_add_u32_e32 v40, 0xc00, v10
	v_add_u32_e32 v21, 0x1000, v10
	;; [unrolled: 1-line block ×3, first 2 shown]
	v_sub_u32_e32 v32, v28, v36
	v_sub_u32_e32 v33, v25, v38
	;; [unrolled: 1-line block ×3, first 2 shown]
	v_lshl_add_u32 v31, v16, 2, 0
	ds_read2_b32 v[16:17], v40 offset0:114 offset1:240
	ds_read_b32 v41, v19
	ds_read_b32 v42, v20
	;; [unrolled: 1-line block ×5, first 2 shown]
	ds_read2_b32 v[18:19], v21 offset0:110 offset1:236
	ds_read2_b32 v[20:21], v35 offset0:106 offset1:232
	ds_read_b32 v35, v32
	ds_read_b32 v46, v39
	ds_read_b32 v47, v10 offset:6552
	s_mov_b32 s4, 0xffff
	s_waitcnt vmcnt(0) lgkmcnt(0)
	s_barrier
	s_movk_i32 s5, 0x1fc
	s_movk_i32 s6, 0x5fc
	v_pk_mul_f16 v48, v24, v16 op_sel:[0,1]
	v_pk_fma_f16 v49, v24, v16, v48 op_sel:[0,0,1] op_sel_hi:[1,1,0]
	v_pk_fma_f16 v16, v24, v16, v48 op_sel:[0,0,1] op_sel_hi:[1,0,0] neg_lo:[1,0,0] neg_hi:[1,0,0]
	v_bfi_b32 v16, s4, v49, v16
	v_pk_add_f16 v16, v45, v16 neg_lo:[0,1] neg_hi:[0,1]
	v_pk_fma_f16 v45, v45, 2.0, v16 op_sel_hi:[1,0,1] neg_lo:[0,0,1] neg_hi:[0,0,1]
	ds_write2_b32 v31, v45, v16 offset1:2
	v_pk_mul_f16 v16, v24, v17 op_sel:[0,1]
	v_pk_fma_f16 v31, v24, v17, v16 op_sel:[0,0,1] op_sel_hi:[1,1,0]
	v_pk_fma_f16 v16, v24, v17, v16 op_sel:[0,0,1] op_sel_hi:[1,0,0] neg_lo:[1,0,0] neg_hi:[1,0,0]
	v_bfi_b32 v16, s4, v31, v16
	v_lshlrev_b32_e32 v17, 1, v7
	v_and_or_b32 v17, v17, s5, v23
	v_pk_add_f16 v16, v46, v16 neg_lo:[0,1] neg_hi:[0,1]
	v_lshl_add_u32 v17, v17, 2, 0
	v_pk_fma_f16 v31, v46, 2.0, v16 op_sel_hi:[1,0,1] neg_lo:[0,0,1] neg_hi:[0,0,1]
	ds_write2_b32 v17, v31, v16 offset1:2
	v_pk_mul_f16 v16, v24, v18 op_sel:[0,1]
	v_pk_fma_f16 v17, v24, v18, v16 op_sel:[0,0,1] op_sel_hi:[1,1,0]
	v_pk_fma_f16 v16, v24, v18, v16 op_sel:[0,0,1] op_sel_hi:[1,0,0] neg_lo:[1,0,0] neg_hi:[1,0,0]
	v_bfi_b32 v16, s4, v17, v16
	s_movk_i32 s5, 0x3fc
	v_lshlrev_b32_e32 v17, 1, v15
	v_and_or_b32 v17, v17, s5, v23
	v_pk_add_f16 v16, v35, v16 neg_lo:[0,1] neg_hi:[0,1]
	v_lshl_add_u32 v17, v17, 2, 0
	v_pk_fma_f16 v18, v35, 2.0, v16 op_sel_hi:[1,0,1] neg_lo:[0,0,1] neg_hi:[0,0,1]
	ds_write2_b32 v17, v18, v16 offset1:2
	v_pk_mul_f16 v16, v24, v19 op_sel:[0,1]
	v_pk_fma_f16 v17, v24, v19, v16 op_sel:[0,0,1] op_sel_hi:[1,1,0]
	v_pk_fma_f16 v16, v24, v19, v16 op_sel:[0,0,1] op_sel_hi:[1,0,0] neg_lo:[1,0,0] neg_hi:[1,0,0]
	v_bfi_b32 v16, s4, v17, v16
	v_lshlrev_b32_e32 v17, 1, v14
	v_and_or_b32 v17, v17, s5, v23
	v_pk_add_f16 v16, v44, v16 neg_lo:[0,1] neg_hi:[0,1]
	v_lshl_add_u32 v17, v17, 2, 0
	v_pk_fma_f16 v18, v44, 2.0, v16 op_sel_hi:[1,0,1] neg_lo:[0,0,1] neg_hi:[0,0,1]
	ds_write2_b32 v17, v18, v16 offset1:2
	v_pk_mul_f16 v16, v24, v20 op_sel:[0,1]
	v_pk_fma_f16 v17, v24, v20, v16 op_sel:[0,0,1] op_sel_hi:[1,1,0]
	v_pk_fma_f16 v16, v24, v20, v16 op_sel:[0,0,1] op_sel_hi:[1,0,0] neg_lo:[1,0,0] neg_hi:[1,0,0]
	v_bfi_b32 v16, s4, v17, v16
	s_movk_i32 s5, 0x7fc
	v_lshlrev_b32_e32 v17, 1, v9
	v_and_or_b32 v17, v17, s5, v23
	v_pk_add_f16 v16, v43, v16 neg_lo:[0,1] neg_hi:[0,1]
	v_lshl_add_u32 v17, v17, 2, 0
	v_pk_fma_f16 v18, v43, 2.0, v16 op_sel_hi:[1,0,1] neg_lo:[0,0,1] neg_hi:[0,0,1]
	ds_write2_b32 v17, v18, v16 offset1:2
	v_pk_mul_f16 v16, v24, v21 op_sel:[0,1]
	v_pk_fma_f16 v17, v24, v21, v16 op_sel:[0,0,1] op_sel_hi:[1,1,0]
	v_pk_fma_f16 v16, v24, v21, v16 op_sel:[0,0,1] op_sel_hi:[1,0,0] neg_lo:[1,0,0] neg_hi:[1,0,0]
	v_bfi_b32 v16, s4, v17, v16
	v_lshlrev_b32_e32 v17, 1, v11
	v_and_or_b32 v17, v17, s6, v23
	v_pk_add_f16 v16, v41, v16 neg_lo:[0,1] neg_hi:[0,1]
	v_lshl_add_u32 v17, v17, 2, 0
	v_pk_fma_f16 v18, v41, 2.0, v16 op_sel_hi:[1,0,1] neg_lo:[0,0,1] neg_hi:[0,0,1]
	ds_write2_b32 v17, v18, v16 offset1:2
	v_pk_mul_f16 v16, v24, v47 op_sel:[0,1]
	v_pk_fma_f16 v17, v24, v47, v16 op_sel:[0,0,1] op_sel_hi:[1,1,0]
	v_pk_fma_f16 v16, v24, v47, v16 op_sel:[0,0,1] op_sel_hi:[1,0,0] neg_lo:[1,0,0] neg_hi:[1,0,0]
	v_lshlrev_b32_e32 v18, 1, v13
	v_bfi_b32 v16, s4, v17, v16
	v_and_or_b32 v18, v18, s5, v23
	v_pk_add_f16 v35, v42, v16 neg_lo:[0,1] neg_hi:[0,1]
	v_sub_u32_e32 v16, 0, v30
	v_lshl_add_u32 v17, v18, 2, 0
	v_pk_fma_f16 v31, v42, 2.0, v35 op_sel_hi:[1,0,1] neg_lo:[0,0,1] neg_hi:[0,0,1]
	v_add_u32_e32 v24, v22, v16
	v_add_u32_e32 v16, 0x800, v10
	ds_write2_b32 v17, v31, v35 offset1:2
	s_waitcnt lgkmcnt(0)
	s_barrier
	ds_read_b32 v32, v32
	ds_read_b32 v30, v33
	;; [unrolled: 1-line block ×4, first 2 shown]
	ds_read2_b32 v[22:23], v16 offset0:76 offset1:202
	ds_read2_b32 v[20:21], v37 offset0:24 offset1:150
	;; [unrolled: 1-line block ×4, first 2 shown]
	s_movk_i32 s4, 0x54
	v_cmp_gt_u32_e32 vcc, s4, v3
	v_lshrrev_b32_e32 v34, 16, v31
	v_lshrrev_b32_e32 v40, 16, v35
                                        ; implicit-def: $vgpr42
                                        ; implicit-def: $vgpr41
	s_and_saveexec_b64 s[4:5], vcc
	s_cbranch_execz .LBB0_15
; %bb.14:
	ds_read_b32 v31, v24
	ds_read_b32 v35, v10 offset:4368
	ds_read_b32 v41, v10 offset:6720
	s_waitcnt lgkmcnt(2)
	v_lshrrev_b32_e32 v34, 16, v31
	s_waitcnt lgkmcnt(1)
	v_lshrrev_b32_e32 v40, 16, v35
	;; [unrolled: 2-line block ×3, first 2 shown]
.LBB0_15:
	s_or_b64 exec, exec, s[4:5]
	v_sub_u32_e32 v37, 0, v36
	v_sub_u32_e32 v36, 0, v38
	v_and_b32_e32 v38, 3, v3
	v_lshlrev_b32_e32 v43, 3, v38
	global_load_dwordx2 v[43:44], v43, s[12:13] offset:8
	s_waitcnt lgkmcnt(3)
	v_lshrrev_b32_e32 v45, 16, v22
	s_waitcnt lgkmcnt(2)
	v_lshrrev_b32_e32 v46, 16, v20
	v_and_b32_e32 v60, 3, v7
	v_lshrrev_b32_e32 v51, 16, v23
	v_lshrrev_b32_e32 v52, 16, v21
	s_waitcnt lgkmcnt(1)
	v_lshrrev_b32_e32 v53, 16, v18
	s_waitcnt lgkmcnt(0)
	v_lshrrev_b32_e32 v54, 16, v16
	v_lshrrev_b32_e32 v55, 16, v19
	;; [unrolled: 1-line block ×4, first 2 shown]
	s_mov_b32 s4, 0xbaee
	s_movk_i32 s5, 0x3aee
	v_lshrrev_b32_e32 v48, 16, v33
	v_lshrrev_b32_e32 v49, 16, v32
	;; [unrolled: 1-line block ×3, first 2 shown]
	v_sub_u32_e32 v27, 0, v27
	s_waitcnt vmcnt(0)
	v_mul_f16_sdwa v57, v43, v45 dst_sel:DWORD dst_unused:UNUSED_PAD src0_sel:WORD_1 src1_sel:DWORD
	v_fma_f16 v57, v43, v22, v57
	v_mul_f16_sdwa v22, v43, v22 dst_sel:DWORD dst_unused:UNUSED_PAD src0_sel:WORD_1 src1_sel:DWORD
	v_fma_f16 v22, v43, v45, -v22
	v_mul_f16_sdwa v45, v44, v46 dst_sel:DWORD dst_unused:UNUSED_PAD src0_sel:WORD_1 src1_sel:DWORD
	v_fma_f16 v58, v44, v20, v45
	v_mul_f16_sdwa v20, v44, v20 dst_sel:DWORD dst_unused:UNUSED_PAD src0_sel:WORD_1 src1_sel:DWORD
	v_fma_f16 v59, v44, v46, -v20
	v_lshlrev_b32_e32 v20, 3, v60
	global_load_dwordx2 v[45:46], v20, s[12:13] offset:8
	s_waitcnt vmcnt(0)
	v_mul_f16_sdwa v20, v45, v51 dst_sel:DWORD dst_unused:UNUSED_PAD src0_sel:WORD_1 src1_sel:DWORD
	v_fma_f16 v61, v45, v23, v20
	v_mul_f16_sdwa v20, v45, v23 dst_sel:DWORD dst_unused:UNUSED_PAD src0_sel:WORD_1 src1_sel:DWORD
	v_fma_f16 v23, v45, v51, -v20
	v_mul_f16_sdwa v20, v46, v52 dst_sel:DWORD dst_unused:UNUSED_PAD src0_sel:WORD_1 src1_sel:DWORD
	v_fma_f16 v45, v46, v21, v20
	v_mul_f16_sdwa v20, v46, v21 dst_sel:DWORD dst_unused:UNUSED_PAD src0_sel:WORD_1 src1_sel:DWORD
	v_fma_f16 v46, v46, v52, -v20
	;; [unrolled: 4-line block ×3, first 2 shown]
	v_mul_f16_sdwa v20, v44, v54 dst_sel:DWORD dst_unused:UNUSED_PAD src0_sel:WORD_1 src1_sel:DWORD
	v_and_b32_e32 v53, 3, v14
	v_fma_f16 v52, v44, v16, v20
	v_lshlrev_b32_e32 v20, 3, v53
	global_load_dwordx2 v[20:21], v20, s[12:13] offset:8
	v_mul_f16_sdwa v16, v44, v16 dst_sel:DWORD dst_unused:UNUSED_PAD src0_sel:WORD_1 src1_sel:DWORD
	v_fma_f16 v16, v44, v54, -v16
	s_waitcnt vmcnt(0)
	s_barrier
	v_mul_f16_sdwa v54, v20, v55 dst_sel:DWORD dst_unused:UNUSED_PAD src0_sel:WORD_1 src1_sel:DWORD
	v_fma_f16 v54, v20, v19, v54
	v_mul_f16_sdwa v19, v20, v19 dst_sel:DWORD dst_unused:UNUSED_PAD src0_sel:WORD_1 src1_sel:DWORD
	v_fma_f16 v19, v20, v55, -v19
	v_mul_f16_sdwa v20, v21, v56 dst_sel:DWORD dst_unused:UNUSED_PAD src0_sel:WORD_1 src1_sel:DWORD
	v_fma_f16 v20, v21, v17, v20
	v_mul_f16_sdwa v17, v21, v17 dst_sel:DWORD dst_unused:UNUSED_PAD src0_sel:WORD_1 src1_sel:DWORD
	v_fma_f16 v17, v21, v56, -v17
	v_mul_f16_sdwa v21, v40, v43 dst_sel:DWORD dst_unused:UNUSED_PAD src0_sel:DWORD src1_sel:WORD_1
	v_fma_f16 v21, v35, v43, v21
	v_mul_f16_sdwa v35, v35, v43 dst_sel:DWORD dst_unused:UNUSED_PAD src0_sel:DWORD src1_sel:WORD_1
	v_fma_f16 v35, v40, v43, -v35
	v_mul_f16_sdwa v40, v42, v44 dst_sel:DWORD dst_unused:UNUSED_PAD src0_sel:DWORD src1_sel:WORD_1
	v_fma_f16 v40, v41, v44, v40
	v_mul_f16_sdwa v41, v41, v44 dst_sel:DWORD dst_unused:UNUSED_PAD src0_sel:DWORD src1_sel:WORD_1
	v_add_f16_e32 v43, v57, v58
	v_fma_f16 v41, v42, v44, -v41
	v_add_f16_e32 v42, v39, v57
	v_fma_f16 v39, v43, -0.5, v39
	v_sub_f16_e32 v43, v22, v59
	v_fma_f16 v44, v43, s4, v39
	v_fma_f16 v39, v43, s5, v39
	v_add_f16_e32 v43, v47, v22
	v_add_f16_e32 v22, v22, v59
	v_fma_f16 v22, v22, -0.5, v47
	v_sub_f16_e32 v47, v57, v58
	v_add_f16_e32 v56, v61, v45
	v_fma_f16 v55, v47, s5, v22
	v_fma_f16 v22, v47, s4, v22
	v_add_f16_e32 v47, v33, v61
	v_fma_f16 v33, v56, -0.5, v33
	v_sub_f16_e32 v56, v23, v46
	v_fma_f16 v57, v56, s4, v33
	v_fma_f16 v56, v56, s5, v33
	v_add_f16_e32 v33, v48, v23
	v_add_f16_e32 v23, v23, v46
	v_add_f16_e32 v42, v42, v58
	v_add_f16_e32 v58, v33, v46
	v_fma_f16 v23, v23, -0.5, v48
	v_sub_f16_e32 v33, v61, v45
	v_add_f16_e32 v47, v47, v45
	v_fma_f16 v45, v33, s5, v23
	v_fma_f16 v23, v33, s4, v23
	v_add_f16_e32 v33, v32, v51
	v_add_f16_e32 v46, v33, v52
	;; [unrolled: 1-line block ×3, first 2 shown]
	v_fma_f16 v32, v33, -0.5, v32
	v_sub_f16_e32 v33, v18, v16
	v_add_f16_e32 v43, v43, v59
	v_fma_f16 v48, v33, s4, v32
	v_fma_f16 v59, v33, s5, v32
	v_add_f16_e32 v32, v49, v18
	v_add_f16_e32 v61, v32, v16
	;; [unrolled: 1-line block ×3, first 2 shown]
	v_fma_f16 v16, v16, -0.5, v49
	v_sub_f16_e32 v18, v51, v52
	v_add_f16_e32 v32, v54, v20
	v_fma_f16 v49, v18, s5, v16
	v_fma_f16 v16, v18, s4, v16
	v_add_f16_e32 v18, v30, v54
	v_fma_f16 v30, v32, -0.5, v30
	v_sub_f16_e32 v32, v19, v17
	v_fma_f16 v51, v32, s4, v30
	v_fma_f16 v52, v32, s5, v30
	v_add_f16_e32 v30, v50, v19
	v_add_f16_e32 v62, v30, v17
	;; [unrolled: 1-line block ×3, first 2 shown]
	v_fma_f16 v17, v17, -0.5, v50
	v_sub_f16_e32 v19, v54, v20
	v_add_f16_e32 v18, v18, v20
	v_fma_f16 v20, v19, s5, v17
	v_fma_f16 v17, v19, s4, v17
	v_add_f16_e32 v19, v31, v21
	v_add_f16_e32 v30, v19, v40
	v_add_f16_e32 v19, v21, v40
	v_fma_f16 v19, v19, -0.5, v31
	v_sub_f16_e32 v31, v35, v41
	v_fma_f16 v32, v31, s4, v19
	v_fma_f16 v33, v31, s5, v19
	v_add_f16_e32 v19, v34, v35
	v_add_f16_e32 v31, v19, v41
	;; [unrolled: 1-line block ×3, first 2 shown]
	v_fma_f16 v19, v19, -0.5, v34
	v_sub_f16_e32 v21, v21, v40
	v_fma_f16 v34, v21, s5, v19
	v_fma_f16 v35, v21, s4, v19
	v_lshrrev_b32_e32 v19, 2, v3
	v_mul_u32_u24_e32 v19, 12, v19
	v_or_b32_e32 v19, v19, v38
	v_lshl_add_u32 v19, v19, 2, 0
	v_pack_b32_f16 v21, v42, v43
	v_pack_b32_f16 v40, v44, v55
	ds_write2_b32 v19, v21, v40 offset1:4
	v_pack_b32_f16 v21, v39, v22
	ds_write_b32 v19, v21 offset:32
	v_lshrrev_b32_e32 v19, 2, v7
	v_mul_lo_u32 v19, v19, 12
	v_pack_b32_f16 v21, v47, v58
	v_pack_b32_f16 v22, v57, v45
	;; [unrolled: 1-line block ×3, first 2 shown]
	v_or_b32_e32 v19, v19, v60
	v_lshl_add_u32 v19, v19, 2, 0
	ds_write2_b32 v19, v21, v22 offset1:4
	v_pack_b32_f16 v21, v56, v23
	ds_write_b32 v19, v21 offset:32
	v_lshrrev_b32_e32 v19, 2, v15
	v_mul_lo_u32 v19, v19, 12
	v_pack_b32_f16 v21, v46, v61
	v_pack_b32_f16 v22, v48, v49
	;; [unrolled: 1-line block ×3, first 2 shown]
	v_or_b32_e32 v19, v19, v38
	v_lshl_add_u32 v19, v19, 2, 0
	ds_write_b32 v19, v16 offset:32
	v_lshrrev_b32_e32 v16, 2, v14
	v_mul_lo_u32 v16, v16, 12
	ds_write2_b32 v19, v21, v22 offset1:4
	v_pack_b32_f16 v19, v51, v20
	v_pack_b32_f16 v17, v52, v17
	v_or_b32_e32 v16, v16, v53
	v_lshl_add_u32 v16, v16, 2, 0
	ds_write2_b32 v16, v18, v19 offset1:4
	ds_write_b32 v16, v17 offset:32
	s_and_saveexec_b64 s[4:5], vcc
	s_cbranch_execz .LBB0_17
; %bb.16:
	v_lshrrev_b32_e32 v16, 2, v9
	v_mul_lo_u32 v16, v16, 12
	s_mov_b32 s6, 0x5040100
	v_perm_b32 v17, v31, v30, s6
	v_perm_b32 v18, v34, v32, s6
	v_or_b32_e32 v16, v16, v38
	v_lshl_add_u32 v16, v16, 2, 0
	ds_write2_b32 v16, v17, v18 offset1:4
	v_perm_b32 v17, v35, v33, s6
	ds_write_b32 v16, v17 offset:32
.LBB0_17:
	s_or_b64 exec, exec, s[4:5]
	v_add_u32_e32 v16, 0x800, v10
	s_waitcnt lgkmcnt(0)
	s_barrier
	ds_read2_b32 v[20:21], v16 offset0:76 offset1:202
	v_add_u32_e32 v16, 0x1200, v10
	ds_read2_b32 v[22:23], v16 offset0:24 offset1:150
	v_add_u32_e32 v16, 0xc00, v10
	v_add_u32_e32 v18, 0x1600, v10
	;; [unrolled: 1-line block ×4, first 2 shown]
	ds_read2_b32 v[16:17], v16 offset0:72 offset1:198
	ds_read2_b32 v[18:19], v18 offset0:20 offset1:146
	v_add_u32_e32 v25, v25, v36
	ds_read_b32 v39, v10
	ds_read_b32 v38, v27
	;; [unrolled: 1-line block ×4, first 2 shown]
	s_and_saveexec_b64 s[4:5], vcc
	s_cbranch_execz .LBB0_19
; %bb.18:
	ds_read_b32 v30, v24
	ds_read_b32 v32, v10 offset:4368
	ds_read_b32 v33, v10 offset:6720
	s_waitcnt lgkmcnt(2)
	v_lshrrev_b32_e32 v31, 16, v30
	s_waitcnt lgkmcnt(1)
	v_lshrrev_b32_e32 v34, 16, v32
	;; [unrolled: 2-line block ×3, first 2 shown]
.LBB0_19:
	s_or_b64 exec, exec, s[4:5]
	s_movk_i32 s4, 0xab
	v_mul_lo_u16_sdwa v40, v3, s4 dst_sel:DWORD dst_unused:UNUSED_PAD src0_sel:BYTE_0 src1_sel:DWORD
	v_lshrrev_b16_e32 v53, 11, v40
	v_mul_lo_u16_e32 v40, 12, v53
	v_sub_u16_e32 v54, v3, v40
	v_mov_b32_e32 v55, 3
	v_lshlrev_b32_sdwa v40, v55, v54 dst_sel:DWORD dst_unused:UNUSED_PAD src0_sel:DWORD src1_sel:BYTE_0
	global_load_dwordx2 v[40:41], v40, s[12:13] offset:40
	s_waitcnt lgkmcnt(7)
	v_lshrrev_b32_e32 v46, 16, v20
	s_waitcnt lgkmcnt(6)
	v_lshrrev_b32_e32 v47, 16, v22
	v_lshrrev_b32_e32 v48, 16, v21
	;; [unrolled: 1-line block ×3, first 2 shown]
	s_mov_b32 s6, 0xaaab
	s_waitcnt lgkmcnt(5)
	v_lshrrev_b32_e32 v50, 16, v16
	s_waitcnt lgkmcnt(4)
	v_lshrrev_b32_e32 v51, 16, v18
	v_lshrrev_b32_e32 v52, 16, v17
	;; [unrolled: 1-line block ×3, first 2 shown]
	v_sub_u32_e32 v28, 0, v29
	s_waitcnt lgkmcnt(3)
	v_lshrrev_b32_e32 v29, 16, v39
	s_mov_b32 s7, 0xbaee
	s_movk_i32 s8, 0x3aee
	s_waitcnt lgkmcnt(2)
	v_lshrrev_b32_e32 v42, 16, v38
	s_waitcnt lgkmcnt(1)
	v_lshrrev_b32_e32 v43, 16, v37
	;; [unrolled: 2-line block ×3, first 2 shown]
	s_waitcnt vmcnt(0)
	v_mul_f16_sdwa v56, v40, v46 dst_sel:DWORD dst_unused:UNUSED_PAD src0_sel:WORD_1 src1_sel:DWORD
	v_fma_f16 v56, v40, v20, v56
	v_mul_f16_sdwa v20, v40, v20 dst_sel:DWORD dst_unused:UNUSED_PAD src0_sel:WORD_1 src1_sel:DWORD
	v_fma_f16 v46, v40, v46, -v20
	v_mul_f16_sdwa v20, v41, v47 dst_sel:DWORD dst_unused:UNUSED_PAD src0_sel:WORD_1 src1_sel:DWORD
	v_fma_f16 v57, v41, v22, v20
	v_mul_f16_sdwa v20, v41, v22 dst_sel:DWORD dst_unused:UNUSED_PAD src0_sel:WORD_1 src1_sel:DWORD
	v_fma_f16 v22, v41, v47, -v20
	v_mul_lo_u16_sdwa v20, v7, s4 dst_sel:DWORD dst_unused:UNUSED_PAD src0_sel:BYTE_0 src1_sel:DWORD
	v_lshrrev_b16_e32 v47, 11, v20
	v_mul_lo_u16_e32 v20, 12, v47
	v_sub_u16_e32 v58, v7, v20
	v_lshlrev_b32_sdwa v20, v55, v58 dst_sel:DWORD dst_unused:UNUSED_PAD src0_sel:DWORD src1_sel:BYTE_0
	global_load_dwordx2 v[40:41], v20, s[12:13] offset:40
	s_waitcnt vmcnt(0)
	v_mul_f16_sdwa v20, v40, v48 dst_sel:DWORD dst_unused:UNUSED_PAD src0_sel:WORD_1 src1_sel:DWORD
	v_fma_f16 v55, v40, v21, v20
	v_mul_f16_sdwa v20, v40, v21 dst_sel:DWORD dst_unused:UNUSED_PAD src0_sel:WORD_1 src1_sel:DWORD
	v_fma_f16 v40, v40, v48, -v20
	v_mul_f16_sdwa v20, v41, v49 dst_sel:DWORD dst_unused:UNUSED_PAD src0_sel:WORD_1 src1_sel:DWORD
	v_fma_f16 v48, v41, v23, v20
	v_mul_f16_sdwa v20, v41, v23 dst_sel:DWORD dst_unused:UNUSED_PAD src0_sel:WORD_1 src1_sel:DWORD
	v_fma_f16 v23, v41, v49, -v20
	v_mul_u32_u24_sdwa v20, v15, s6 dst_sel:DWORD dst_unused:UNUSED_PAD src0_sel:WORD_0 src1_sel:DWORD
	v_lshrrev_b32_e32 v41, 19, v20
	v_mul_lo_u16_e32 v20, 12, v41
	v_sub_u16_e32 v49, v15, v20
	v_lshlrev_b32_e32 v20, 3, v49
	global_load_dwordx2 v[20:21], v20, s[12:13] offset:40
	s_waitcnt vmcnt(0)
	v_mul_f16_sdwa v59, v20, v50 dst_sel:DWORD dst_unused:UNUSED_PAD src0_sel:WORD_1 src1_sel:DWORD
	v_fma_f16 v59, v20, v16, v59
	v_mul_f16_sdwa v16, v20, v16 dst_sel:DWORD dst_unused:UNUSED_PAD src0_sel:WORD_1 src1_sel:DWORD
	v_fma_f16 v16, v20, v50, -v16
	v_mul_f16_sdwa v20, v21, v51 dst_sel:DWORD dst_unused:UNUSED_PAD src0_sel:WORD_1 src1_sel:DWORD
	v_fma_f16 v50, v21, v18, v20
	v_mul_f16_sdwa v18, v21, v18 dst_sel:DWORD dst_unused:UNUSED_PAD src0_sel:WORD_1 src1_sel:DWORD
	v_mul_u32_u24_sdwa v20, v14, s6 dst_sel:DWORD dst_unused:UNUSED_PAD src0_sel:WORD_0 src1_sel:DWORD
	v_fma_f16 v18, v21, v51, -v18
	v_lshrrev_b32_e32 v51, 19, v20
	v_mul_lo_u16_e32 v20, 12, v51
	v_sub_u16_e32 v60, v14, v20
	v_lshlrev_b32_e32 v20, 3, v60
	global_load_dwordx2 v[20:21], v20, s[12:13] offset:40
	s_waitcnt vmcnt(0)
	s_barrier
	v_mul_f16_sdwa v61, v20, v52 dst_sel:DWORD dst_unused:UNUSED_PAD src0_sel:WORD_1 src1_sel:DWORD
	v_fma_f16 v61, v20, v17, v61
	v_mul_f16_sdwa v17, v20, v17 dst_sel:DWORD dst_unused:UNUSED_PAD src0_sel:WORD_1 src1_sel:DWORD
	v_fma_f16 v17, v20, v52, -v17
	v_mul_f16_sdwa v20, v45, v21 dst_sel:DWORD dst_unused:UNUSED_PAD src0_sel:DWORD src1_sel:WORD_1
	v_fma_f16 v20, v19, v21, v20
	v_mul_f16_sdwa v19, v19, v21 dst_sel:DWORD dst_unused:UNUSED_PAD src0_sel:DWORD src1_sel:WORD_1
	v_fma_f16 v19, v45, v21, -v19
	v_add_f16_e32 v45, v56, v57
	v_add_f16_e32 v21, v39, v56
	v_fma_f16 v39, v45, -0.5, v39
	v_sub_f16_e32 v45, v46, v22
	v_fma_f16 v52, v45, s7, v39
	v_fma_f16 v39, v45, s8, v39
	v_add_f16_e32 v45, v29, v46
	v_add_f16_e32 v45, v45, v22
	;; [unrolled: 1-line block ×3, first 2 shown]
	v_fma_f16 v22, v22, -0.5, v29
	v_sub_f16_e32 v29, v56, v57
	v_add_f16_e32 v56, v55, v48
	v_fma_f16 v46, v29, s8, v22
	v_fma_f16 v22, v29, s7, v22
	v_add_f16_e32 v29, v38, v55
	v_fma_f16 v38, v56, -0.5, v38
	v_sub_f16_e32 v56, v40, v23
	v_add_f16_e32 v21, v21, v57
	v_fma_f16 v57, v56, s7, v38
	v_fma_f16 v38, v56, s8, v38
	v_add_f16_e32 v56, v42, v40
	v_add_f16_e32 v56, v56, v23
	;; [unrolled: 1-line block ×4, first 2 shown]
	v_fma_f16 v23, v23, -0.5, v42
	v_sub_f16_e32 v40, v55, v48
	v_add_f16_e32 v48, v59, v50
	v_fma_f16 v42, v40, s8, v23
	v_fma_f16 v23, v40, s7, v23
	v_add_f16_e32 v40, v37, v59
	v_fma_f16 v37, v48, -0.5, v37
	v_sub_f16_e32 v48, v16, v18
	v_fma_f16 v55, v48, s7, v37
	v_fma_f16 v37, v48, s8, v37
	v_add_f16_e32 v48, v43, v16
	v_add_f16_e32 v16, v16, v18
	;; [unrolled: 1-line block ×3, first 2 shown]
	v_fma_f16 v16, v16, -0.5, v43
	v_sub_f16_e32 v18, v59, v50
	v_fma_f16 v43, v18, s8, v16
	v_fma_f16 v18, v18, s7, v16
	v_add_f16_e32 v16, v36, v61
	v_add_f16_e32 v40, v40, v50
	;; [unrolled: 1-line block ×4, first 2 shown]
	v_fma_f16 v16, v16, -0.5, v36
	v_sub_f16_e32 v36, v17, v19
	v_fma_f16 v59, v36, s7, v16
	v_fma_f16 v36, v36, s8, v16
	v_add_f16_e32 v16, v44, v17
	v_add_f16_e32 v62, v16, v19
	;; [unrolled: 1-line block ×3, first 2 shown]
	v_fma_f16 v16, v16, -0.5, v44
	v_sub_f16_e32 v17, v61, v20
	v_fma_f16 v19, v17, s8, v16
	v_fma_f16 v17, v17, s7, v16
	v_mov_b32_e32 v16, 2
	v_mul_u32_u24_e32 v20, 0x90, v53
	v_lshlrev_b32_sdwa v44, v16, v54 dst_sel:DWORD dst_unused:UNUSED_PAD src0_sel:DWORD src1_sel:BYTE_0
	v_add3_u32 v20, 0, v20, v44
	v_pack_b32_f16 v21, v21, v45
	v_pack_b32_f16 v44, v52, v46
	ds_write2_b32 v20, v21, v44 offset1:12
	v_pack_b32_f16 v21, v39, v22
	ds_write_b32 v20, v21 offset:96
	v_mul_u32_u24_e32 v20, 0x90, v47
	v_lshlrev_b32_sdwa v21, v16, v58 dst_sel:DWORD dst_unused:UNUSED_PAD src0_sel:DWORD src1_sel:BYTE_0
	v_add3_u32 v20, 0, v20, v21
	v_pack_b32_f16 v21, v29, v56
	v_pack_b32_f16 v22, v57, v42
	ds_write2_b32 v20, v21, v22 offset1:12
	v_pack_b32_f16 v21, v38, v23
	ds_write_b32 v20, v21 offset:96
	v_mul_u32_u24_e32 v20, 0x90, v41
	v_lshlrev_b32_e32 v21, 2, v49
	v_add3_u32 v20, 0, v20, v21
	v_pack_b32_f16 v21, v40, v48
	v_pack_b32_f16 v22, v55, v43
	;; [unrolled: 1-line block ×3, first 2 shown]
	ds_write2_b32 v20, v21, v22 offset1:12
	ds_write_b32 v20, v18 offset:96
	v_mul_u32_u24_e32 v18, 0x90, v51
	v_lshlrev_b32_e32 v20, 2, v60
	v_add3_u32 v18, 0, v18, v20
	v_pack_b32_f16 v20, v50, v62
	v_pack_b32_f16 v19, v59, v19
	;; [unrolled: 1-line block ×3, first 2 shown]
	ds_write2_b32 v18, v20, v19 offset1:12
	ds_write_b32 v18, v17 offset:96
	s_and_saveexec_b64 s[4:5], vcc
	s_cbranch_execz .LBB0_21
; %bb.20:
	v_mul_u32_u24_sdwa v17, v9, s6 dst_sel:DWORD dst_unused:UNUSED_PAD src0_sel:WORD_0 src1_sel:DWORD
	v_lshrrev_b32_e32 v19, 19, v17
	v_mul_lo_u16_e32 v17, 12, v19
	v_sub_u16_e32 v20, v9, v17
	v_lshlrev_b32_e32 v17, 3, v20
	global_load_dwordx2 v[17:18], v17, s[12:13] offset:40
	v_mul_lo_u16_e32 v19, 36, v19
	v_lshlrev_b32_e32 v19, 2, v19
	v_lshlrev_b32_e32 v20, 2, v20
	v_add3_u32 v19, 0, v20, v19
	s_waitcnt vmcnt(0)
	v_mul_f16_sdwa v20, v34, v17 dst_sel:DWORD dst_unused:UNUSED_PAD src0_sel:DWORD src1_sel:WORD_1
	v_mul_f16_sdwa v21, v35, v18 dst_sel:DWORD dst_unused:UNUSED_PAD src0_sel:DWORD src1_sel:WORD_1
	;; [unrolled: 1-line block ×4, first 2 shown]
	v_fma_f16 v20, v32, v17, v20
	v_fma_f16 v21, v33, v18, v21
	v_fma_f16 v17, v34, v17, -v22
	v_fma_f16 v18, v35, v18, -v23
	v_add_f16_e32 v23, v17, v18
	v_add_f16_e32 v29, v20, v21
	v_sub_f16_e32 v22, v20, v21
	v_sub_f16_e32 v32, v17, v18
	v_add_f16_e32 v17, v31, v17
	v_add_f16_e32 v20, v30, v20
	v_fma_f16 v23, v23, -0.5, v31
	v_fma_f16 v29, v29, -0.5, v30
	v_add_f16_e32 v17, v17, v18
	v_add_f16_e32 v18, v20, v21
	v_fma_f16 v20, v22, s8, v23
	v_fma_f16 v21, v32, s7, v29
	v_fma_f16 v22, v22, s7, v23
	v_fma_f16 v23, v32, s8, v29
	v_pack_b32_f16 v17, v18, v17
	v_pack_b32_f16 v18, v21, v20
	;; [unrolled: 1-line block ×3, first 2 shown]
	ds_write2_b32 v19, v17, v18 offset1:12
	ds_write_b32 v19, v20 offset:96
.LBB0_21:
	s_or_b64 exec, exec, s[4:5]
	v_mov_b32_e32 v17, 57
	v_mul_lo_u16_sdwa v18, v3, v17 dst_sel:DWORD dst_unused:UNUSED_PAD src0_sel:BYTE_0 src1_sel:DWORD
	v_lshrrev_b16_e32 v23, 11, v18
	v_mul_lo_u16_e32 v18, 36, v23
	v_sub_u16_e32 v45, v3, v18
	v_mov_b32_e32 v18, 6
	v_mul_u32_u24_sdwa v19, v45, v18 dst_sel:DWORD dst_unused:UNUSED_PAD src0_sel:BYTE_0 src1_sel:DWORD
	v_lshlrev_b32_e32 v37, 2, v19
	s_waitcnt lgkmcnt(0)
	s_barrier
	global_load_dwordx4 v[19:22], v37, s[12:13] offset:136
	v_mul_lo_u16_sdwa v17, v7, v17 dst_sel:DWORD dst_unused:UNUSED_PAD src0_sel:BYTE_0 src1_sel:DWORD
	v_lshrrev_b16_e32 v17, 11, v17
	v_mul_lo_u16_e32 v29, 36, v17
	v_sub_u16_e32 v46, v7, v29
	v_mul_u32_u24_sdwa v18, v46, v18 dst_sel:DWORD dst_unused:UNUSED_PAD src0_sel:BYTE_0 src1_sel:DWORD
	v_lshlrev_b32_e32 v18, 2, v18
	global_load_dwordx4 v[29:32], v18, s[12:13] offset:136
	global_load_dwordx2 v[33:34], v37, s[12:13] offset:152
	global_load_dwordx2 v[35:36], v18, s[12:13] offset:152
	ds_read_b32 v47, v10
	ds_read_b32 v48, v24
	v_add_u32_e32 v18, v12, v28
	v_add_u32_e32 v12, 0xc00, v10
	;; [unrolled: 1-line block ×5, first 2 shown]
	ds_read_b32 v28, v26
	ds_read_b32 v52, v27
	ds_read_b32 v53, v10 offset:6552
	ds_read_b32 v54, v18
	ds_read2_b32 v[37:38], v12 offset0:114 offset1:240
	ds_read2_b32 v[39:40], v49 offset0:110 offset1:236
	ds_read2_b32 v[41:42], v51 offset0:2 offset1:254
	ds_read2_b32 v[43:44], v50 offset0:106 offset1:232
	s_waitcnt lgkmcnt(7)
	v_lshrrev_b32_e32 v55, 16, v28
	v_lshrrev_b32_e32 v56, 16, v48
	s_waitcnt lgkmcnt(4)
	v_lshrrev_b32_e32 v60, 16, v54
	s_waitcnt lgkmcnt(3)
	;; [unrolled: 2-line block ×3, first 2 shown]
	v_lshrrev_b32_e32 v58, 16, v41
	v_lshrrev_b32_e32 v59, 16, v42
	v_lshrrev_b32_e32 v57, 16, v53
	s_movk_i32 s5, 0x2b26
	s_movk_i32 s6, 0x39e0
	s_mov_b32 s7, 0xb9e0
	s_mov_b32 s4, 0xbb00
	;; [unrolled: 1-line block ×4, first 2 shown]
	s_movk_i32 s15, 0x3574
	s_mov_b32 s8, 0xb70e
	v_mul_u32_u24_e32 v23, 0x3f0, v23
	s_waitcnt vmcnt(0) lgkmcnt(0)
	s_barrier
	v_mul_u32_u24_e32 v17, 0x3f0, v17
	v_mul_f16_sdwa v62, v19, v55 dst_sel:DWORD dst_unused:UNUSED_PAD src0_sel:WORD_1 src1_sel:DWORD
	v_fma_f16 v62, v19, v28, v62
	v_mul_f16_sdwa v28, v19, v28 dst_sel:DWORD dst_unused:UNUSED_PAD src0_sel:WORD_1 src1_sel:DWORD
	v_fma_f16 v19, v19, v55, -v28
	v_mul_f16_sdwa v28, v20, v56 dst_sel:DWORD dst_unused:UNUSED_PAD src0_sel:WORD_1 src1_sel:DWORD
	v_fma_f16 v28, v20, v48, v28
	v_mul_f16_sdwa v48, v20, v48 dst_sel:DWORD dst_unused:UNUSED_PAD src0_sel:WORD_1 src1_sel:DWORD
	v_fma_f16 v20, v20, v56, -v48
	;; [unrolled: 4-line block ×3, first 2 shown]
	v_mul_f16_sdwa v54, v22, v38 dst_sel:DWORD dst_unused:UNUSED_PAD src0_sel:WORD_1 src1_sel:DWORD
	v_mul_f16_sdwa v55, v22, v61 dst_sel:DWORD dst_unused:UNUSED_PAD src0_sel:WORD_1 src1_sel:DWORD
	v_fma_f16 v54, v22, v61, -v54
	v_fma_f16 v22, v22, v38, v55
	v_lshrrev_b32_e32 v38, 16, v37
	v_mul_f16_sdwa v55, v58, v29 dst_sel:DWORD dst_unused:UNUSED_PAD src0_sel:DWORD src1_sel:WORD_1
	v_mul_f16_sdwa v60, v59, v30 dst_sel:DWORD dst_unused:UNUSED_PAD src0_sel:DWORD src1_sel:WORD_1
	v_mul_f16_sdwa v56, v41, v29 dst_sel:DWORD dst_unused:UNUSED_PAD src0_sel:DWORD src1_sel:WORD_1
	v_fma_f16 v41, v41, v29, v55
	v_fma_f16 v55, v42, v30, v60
	v_mul_f16_sdwa v60, v38, v31 dst_sel:DWORD dst_unused:UNUSED_PAD src0_sel:DWORD src1_sel:WORD_1
	v_fma_f16 v60, v37, v31, v60
	v_mul_f16_sdwa v37, v37, v31 dst_sel:DWORD dst_unused:UNUSED_PAD src0_sel:DWORD src1_sel:WORD_1
	v_fma_f16 v29, v58, v29, -v56
	v_lshrrev_b32_e32 v56, 16, v39
	v_fma_f16 v31, v38, v31, -v37
	v_mul_f16_sdwa v37, v39, v32 dst_sel:DWORD dst_unused:UNUSED_PAD src0_sel:DWORD src1_sel:WORD_1
	v_mul_f16_sdwa v38, v56, v32 dst_sel:DWORD dst_unused:UNUSED_PAD src0_sel:DWORD src1_sel:WORD_1
	;; [unrolled: 1-line block ×3, first 2 shown]
	v_fma_f16 v37, v56, v32, -v37
	v_fma_f16 v32, v39, v32, v38
	v_lshrrev_b32_e32 v38, 16, v40
	v_lshrrev_b32_e32 v61, 16, v44
	v_fma_f16 v30, v59, v30, -v42
	v_lshrrev_b32_e32 v42, 16, v43
	v_mul_f16_sdwa v39, v33, v38 dst_sel:DWORD dst_unused:UNUSED_PAD src0_sel:WORD_1 src1_sel:DWORD
	v_mul_f16_sdwa v56, v33, v40 dst_sel:DWORD dst_unused:UNUSED_PAD src0_sel:WORD_1 src1_sel:DWORD
	v_mul_f16_sdwa v58, v61, v34 dst_sel:DWORD dst_unused:UNUSED_PAD src0_sel:DWORD src1_sel:WORD_1
	v_fma_f16 v38, v33, v38, -v56
	v_mul_f16_sdwa v56, v44, v34 dst_sel:DWORD dst_unused:UNUSED_PAD src0_sel:DWORD src1_sel:WORD_1
	v_mul_f16_sdwa v59, v42, v35 dst_sel:DWORD dst_unused:UNUSED_PAD src0_sel:DWORD src1_sel:WORD_1
	v_fma_f16 v33, v33, v40, v39
	v_mul_f16_sdwa v40, v43, v35 dst_sel:DWORD dst_unused:UNUSED_PAD src0_sel:DWORD src1_sel:WORD_1
	v_fma_f16 v56, v61, v34, -v56
	v_fma_f16 v34, v44, v34, v58
	v_fma_f16 v39, v43, v35, v59
	v_fma_f16 v35, v42, v35, -v40
	v_mul_f16_sdwa v40, v57, v36 dst_sel:DWORD dst_unused:UNUSED_PAD src0_sel:DWORD src1_sel:WORD_1
	v_mul_f16_sdwa v42, v53, v36 dst_sel:DWORD dst_unused:UNUSED_PAD src0_sel:DWORD src1_sel:WORD_1
	v_fma_f16 v40, v53, v36, v40
	v_fma_f16 v36, v57, v36, -v42
	v_add_f16_e32 v42, v62, v34
	v_add_f16_e32 v43, v19, v56
	;; [unrolled: 1-line block ×4, first 2 shown]
	v_sub_f16_e32 v28, v28, v33
	v_add_f16_e32 v33, v48, v22
	v_sub_f16_e32 v34, v62, v34
	v_sub_f16_e32 v19, v19, v56
	;; [unrolled: 1-line block ×3, first 2 shown]
	v_add_f16_e32 v38, v21, v54
	v_sub_f16_e32 v22, v22, v48
	v_sub_f16_e32 v21, v54, v21
	v_add_f16_e32 v48, v44, v42
	v_add_f16_e32 v54, v53, v43
	v_sub_f16_e32 v56, v44, v42
	v_sub_f16_e32 v42, v42, v33
	;; [unrolled: 1-line block ×6, first 2 shown]
	v_add_f16_e32 v58, v22, v28
	v_add_f16_e32 v59, v21, v20
	v_sub_f16_e32 v61, v22, v28
	v_sub_f16_e32 v62, v21, v20
	;; [unrolled: 1-line block ×4, first 2 shown]
	v_add_f16_e32 v33, v33, v48
	v_add_f16_e32 v38, v38, v54
	v_mul_f16_e32 v42, 0x3a52, v42
	v_mul_f16_e32 v54, 0x2b26, v44
	v_sub_f16_e32 v22, v34, v22
	v_sub_f16_e32 v21, v19, v21
	v_add_f16_e32 v34, v58, v34
	v_add_f16_e32 v19, v59, v19
	;; [unrolled: 1-line block ×3, first 2 shown]
	v_add_f16_sdwa v47, v38, v47 dst_sel:DWORD dst_unused:UNUSED_PAD src0_sel:DWORD src1_sel:WORD_1
	v_mul_f16_e32 v43, 0x3a52, v43
	v_mul_f16_e32 v58, 0x2b26, v53
	;; [unrolled: 1-line block ×5, first 2 shown]
	v_fma_f16 v44, v44, s5, v42
	v_fma_f16 v54, v56, s6, -v54
	v_fma_f16 v42, v56, s7, -v42
	v_mul_f16_e32 v56, 0xbb00, v20
	v_fma_f16 v33, v33, s14, v48
	v_fma_f16 v38, v38, s14, v47
	;; [unrolled: 1-line block ×3, first 2 shown]
	v_fma_f16 v58, v57, s6, -v58
	v_fma_f16 v43, v57, s7, -v43
	v_fma_f16 v57, v22, s9, v59
	v_fma_f16 v28, v28, s4, -v59
	v_fma_f16 v59, v21, s9, v61
	v_fma_f16 v20, v20, s4, -v61
	v_fma_f16 v22, v22, s15, -v62
	;; [unrolled: 1-line block ×3, first 2 shown]
	v_add_f16_e32 v44, v44, v33
	v_add_f16_e32 v53, v53, v38
	;; [unrolled: 1-line block ×6, first 2 shown]
	v_fma_f16 v42, v34, s8, v57
	v_fma_f16 v43, v19, s8, v59
	;; [unrolled: 1-line block ×6, first 2 shown]
	v_add_f16_e32 v21, v43, v44
	v_sub_f16_e32 v34, v53, v42
	v_add_f16_e32 v57, v19, v33
	v_sub_f16_e32 v58, v38, v22
	v_sub_f16_e32 v19, v33, v19
	v_add_f16_e32 v22, v22, v38
	v_sub_f16_e32 v33, v44, v43
	v_add_f16_e32 v38, v42, v53
	v_add_f16_e32 v42, v41, v40
	;; [unrolled: 1-line block ×3, first 2 shown]
	v_sub_f16_e32 v40, v41, v40
	v_sub_f16_e32 v29, v29, v36
	v_add_f16_e32 v36, v55, v39
	v_add_f16_e32 v41, v30, v35
	v_sub_f16_e32 v30, v30, v35
	v_add_f16_e32 v44, v31, v37
	v_sub_f16_e32 v31, v37, v31
	v_sub_f16_e32 v39, v55, v39
	v_add_f16_e32 v35, v60, v32
	v_sub_f16_e32 v32, v32, v60
	v_add_f16_e32 v37, v36, v42
	v_add_f16_e32 v53, v41, v43
	v_sub_f16_e32 v55, v41, v43
	v_sub_f16_e32 v43, v43, v44
	v_sub_f16_e32 v41, v44, v41
	v_add_f16_e32 v60, v31, v30
	v_sub_f16_e32 v59, v54, v20
	v_add_f16_e32 v61, v28, v56
	v_add_f16_e32 v20, v20, v54
	v_sub_f16_e32 v28, v56, v28
	v_sub_f16_e32 v54, v36, v42
	;; [unrolled: 1-line block ×4, first 2 shown]
	v_add_f16_e32 v56, v32, v39
	v_add_f16_e32 v35, v35, v37
	v_sub_f16_e32 v37, v31, v30
	v_sub_f16_e32 v31, v29, v31
	v_sub_f16_e32 v30, v30, v29
	v_add_f16_e32 v29, v60, v29
	v_mul_f16_e32 v43, 0x3a52, v43
	v_mul_f16_e32 v60, 0x2b26, v41
	v_sub_f16_e32 v62, v32, v39
	v_sub_f16_e32 v32, v40, v32
	;; [unrolled: 1-line block ×3, first 2 shown]
	v_add_f16_e32 v44, v44, v53
	v_add_f16_e32 v40, v56, v40
	;; [unrolled: 1-line block ×3, first 2 shown]
	v_mul_f16_e32 v42, 0x3a52, v42
	v_mul_f16_e32 v56, 0x2b26, v36
	;; [unrolled: 1-line block ×3, first 2 shown]
	v_fma_f16 v41, v41, s5, v43
	v_fma_f16 v60, v55, s6, -v60
	v_fma_f16 v43, v55, s7, -v43
	v_mul_f16_e32 v55, 0xbb00, v30
	v_add_f16_sdwa v52, v44, v52 dst_sel:DWORD dst_unused:UNUSED_PAD src0_sel:DWORD src1_sel:WORD_1
	v_mul_f16_e32 v62, 0x3846, v62
	v_fma_f16 v36, v36, s5, v42
	v_fma_f16 v56, v54, s6, -v56
	v_fma_f16 v42, v54, s7, -v42
	v_mul_f16_e32 v54, 0xbb00, v39
	v_fma_f16 v35, v35, s14, v53
	v_fma_f16 v30, v30, s4, -v37
	v_fma_f16 v37, v31, s9, v37
	v_fma_f16 v31, v31, s15, -v55
	v_fma_f16 v44, v44, s14, v52
	v_fma_f16 v39, v39, s4, -v62
	v_fma_f16 v62, v32, s9, v62
	v_fma_f16 v32, v32, s15, -v54
	v_add_f16_e32 v36, v36, v35
	v_add_f16_e32 v54, v56, v35
	;; [unrolled: 1-line block ×3, first 2 shown]
	v_fma_f16 v37, v29, s8, v37
	v_fma_f16 v30, v29, s8, v30
	;; [unrolled: 1-line block ×3, first 2 shown]
	v_add_f16_e32 v41, v41, v44
	v_add_f16_e32 v55, v60, v44
	v_add_f16_e32 v42, v43, v44
	v_add_f16_e32 v31, v37, v36
	v_add_f16_e32 v44, v29, v35
	v_sub_f16_e32 v29, v35, v29
	v_sub_f16_e32 v35, v36, v37
	v_lshlrev_b32_sdwa v37, v16, v45 dst_sel:DWORD dst_unused:UNUSED_PAD src0_sel:DWORD src1_sel:BYTE_0
	v_fma_f16 v43, v40, s8, v62
	v_add3_u32 v23, 0, v23, v37
	v_pack_b32_f16 v20, v20, v28
	v_pack_b32_f16 v19, v19, v22
	v_fma_f16 v39, v40, s8, v39
	v_fma_f16 v32, v40, s8, v32
	v_sub_f16_e32 v40, v41, v43
	v_pack_b32_f16 v37, v48, v47
	v_pack_b32_f16 v21, v21, v34
	ds_write2_b32 v23, v20, v19 offset0:144 offset1:180
	v_pack_b32_f16 v19, v33, v38
	v_lshlrev_b32_sdwa v16, v16, v46 dst_sel:DWORD dst_unused:UNUSED_PAD src0_sel:DWORD src1_sel:BYTE_0
	v_sub_f16_e32 v56, v42, v32
	v_sub_f16_e32 v60, v54, v30
	v_add_f16_e32 v62, v39, v55
	ds_write2_b32 v23, v37, v21 offset1:36
	v_pack_b32_f16 v21, v57, v58
	v_pack_b32_f16 v34, v59, v61
	ds_write_b32 v23, v19 offset:864
	v_add3_u32 v16, 0, v17, v16
	v_pack_b32_f16 v17, v53, v52
	v_pack_b32_f16 v19, v31, v40
	v_add_f16_e32 v30, v30, v54
	v_sub_f16_e32 v39, v55, v39
	v_add_f16_e32 v32, v32, v42
	ds_write2_b32 v23, v21, v34 offset0:72 offset1:108
	ds_write2_b32 v16, v17, v19 offset1:36
	v_pack_b32_f16 v17, v44, v56
	v_pack_b32_f16 v19, v60, v62
	v_add_f16_e32 v36, v43, v41
	ds_write2_b32 v16, v17, v19 offset0:72 offset1:108
	v_pack_b32_f16 v17, v30, v39
	v_pack_b32_f16 v19, v29, v32
	ds_write2_b32 v16, v17, v19 offset0:144 offset1:180
	v_pack_b32_f16 v17, v35, v36
	ds_write_b32 v16, v17 offset:864
	v_mul_u32_u24_e32 v16, 6, v3
	v_lshlrev_b32_e32 v16, 2, v16
	s_waitcnt lgkmcnt(0)
	s_barrier
	global_load_dwordx4 v[19:22], v16, s[12:13] offset:1000
	global_load_dwordx2 v[32:33], v16, s[12:13] offset:1016
	v_mul_i32_i24_e32 v16, 6, v7
	v_mov_b32_e32 v17, 0
	v_lshlrev_b64 v[28:29], 2, v[16:17]
	v_mov_b32_e32 v16, s13
	v_add_co_u32_e32 v34, vcc, s12, v28
	v_addc_co_u32_e32 v35, vcc, v16, v29, vcc
	global_load_dwordx4 v[28:31], v[34:35], off offset:1000
	global_load_dwordx2 v[36:37], v[34:35], off offset:1016
	ds_read_b32 v16, v10
	ds_read_b32 v23, v24
	ds_read2_b32 v[34:35], v50 offset0:106 offset1:232
	ds_read2_b32 v[38:39], v51 offset0:2 offset1:254
	ds_read_b32 v44, v18
	ds_read2_b32 v[40:41], v12 offset0:114 offset1:240
	ds_read2_b32 v[42:43], v49 offset0:110 offset1:236
	ds_read_b32 v46, v26
	ds_read_b32 v47, v27
	ds_read_b32 v48, v10 offset:6552
	s_waitcnt lgkmcnt(7)
	v_lshrrev_b32_e32 v12, 16, v35
	s_waitcnt lgkmcnt(6)
	v_lshrrev_b32_e32 v45, 16, v38
	;; [unrolled: 2-line block ×3, first 2 shown]
	v_lshrrev_b32_e32 v49, 16, v39
	v_lshrrev_b32_e32 v50, 16, v40
	;; [unrolled: 1-line block ×4, first 2 shown]
	s_waitcnt lgkmcnt(0)
	v_lshrrev_b32_e32 v53, 16, v48
	s_waitcnt vmcnt(0)
	s_barrier
	v_cmp_ne_u32_e32 vcc, 0, v3
	v_mul_f16_sdwa v55, v19, v54 dst_sel:DWORD dst_unused:UNUSED_PAD src0_sel:WORD_1 src1_sel:DWORD
	v_fma_f16 v55, v19, v46, v55
	v_mul_f16_sdwa v46, v19, v46 dst_sel:DWORD dst_unused:UNUSED_PAD src0_sel:WORD_1 src1_sel:DWORD
	v_fma_f16 v19, v19, v54, -v46
	v_lshrrev_b32_e32 v46, 16, v23
	v_mul_f16_sdwa v54, v20, v46 dst_sel:DWORD dst_unused:UNUSED_PAD src0_sel:WORD_1 src1_sel:DWORD
	v_fma_f16 v54, v20, v23, v54
	v_mul_f16_sdwa v23, v20, v23 dst_sel:DWORD dst_unused:UNUSED_PAD src0_sel:WORD_1 src1_sel:DWORD
	v_fma_f16 v20, v20, v46, -v23
	v_lshrrev_b32_e32 v23, 16, v44
	;; [unrolled: 5-line block ×4, first 2 shown]
	v_mul_f16_sdwa v41, v32, v23 dst_sel:DWORD dst_unused:UNUSED_PAD src0_sel:WORD_1 src1_sel:DWORD
	v_fma_f16 v41, v32, v43, v41
	v_mul_f16_sdwa v43, v32, v43 dst_sel:DWORD dst_unused:UNUSED_PAD src0_sel:WORD_1 src1_sel:DWORD
	v_fma_f16 v23, v32, v23, -v43
	v_mul_f16_sdwa v32, v12, v33 dst_sel:DWORD dst_unused:UNUSED_PAD src0_sel:DWORD src1_sel:WORD_1
	v_fma_f16 v32, v35, v33, v32
	v_mul_f16_sdwa v35, v35, v33 dst_sel:DWORD dst_unused:UNUSED_PAD src0_sel:DWORD src1_sel:WORD_1
	v_fma_f16 v12, v12, v33, -v35
	v_mul_f16_sdwa v33, v45, v28 dst_sel:DWORD dst_unused:UNUSED_PAD src0_sel:DWORD src1_sel:WORD_1
	v_mul_f16_sdwa v35, v38, v28 dst_sel:DWORD dst_unused:UNUSED_PAD src0_sel:DWORD src1_sel:WORD_1
	v_fma_f16 v33, v38, v28, v33
	v_fma_f16 v28, v45, v28, -v35
	v_mul_f16_sdwa v35, v49, v29 dst_sel:DWORD dst_unused:UNUSED_PAD src0_sel:DWORD src1_sel:WORD_1
	v_mul_f16_sdwa v38, v39, v29 dst_sel:DWORD dst_unused:UNUSED_PAD src0_sel:DWORD src1_sel:WORD_1
	v_fma_f16 v35, v39, v29, v35
	;; [unrolled: 4-line block ×4, first 2 shown]
	v_fma_f16 v31, v51, v31, -v40
	v_mul_f16_sdwa v40, v52, v36 dst_sel:DWORD dst_unused:UNUSED_PAD src0_sel:DWORD src1_sel:WORD_1
	v_fma_f16 v40, v34, v36, v40
	v_mul_f16_sdwa v34, v34, v36 dst_sel:DWORD dst_unused:UNUSED_PAD src0_sel:DWORD src1_sel:WORD_1
	v_fma_f16 v34, v52, v36, -v34
	v_mul_f16_sdwa v36, v53, v37 dst_sel:DWORD dst_unused:UNUSED_PAD src0_sel:DWORD src1_sel:WORD_1
	v_mul_f16_sdwa v42, v48, v37 dst_sel:DWORD dst_unused:UNUSED_PAD src0_sel:DWORD src1_sel:WORD_1
	v_fma_f16 v36, v48, v37, v36
	v_fma_f16 v37, v53, v37, -v42
	v_add_f16_e32 v42, v55, v32
	v_add_f16_e32 v43, v19, v12
	v_sub_f16_e32 v12, v19, v12
	v_add_f16_e32 v19, v54, v41
	v_add_f16_e32 v45, v20, v23
	v_sub_f16_e32 v32, v55, v32
	v_sub_f16_e32 v41, v54, v41
	;; [unrolled: 1-line block ×3, first 2 shown]
	v_add_f16_e32 v23, v46, v44
	v_add_f16_e32 v48, v21, v22
	v_sub_f16_e32 v44, v44, v46
	v_sub_f16_e32 v21, v22, v21
	v_add_f16_e32 v22, v19, v42
	v_add_f16_e32 v46, v45, v43
	v_sub_f16_e32 v49, v19, v42
	v_sub_f16_e32 v50, v45, v43
	;; [unrolled: 1-line block ×6, first 2 shown]
	v_add_f16_e32 v51, v44, v41
	v_add_f16_e32 v52, v21, v20
	v_sub_f16_e32 v53, v44, v41
	v_sub_f16_e32 v54, v21, v20
	;; [unrolled: 1-line block ×4, first 2 shown]
	v_add_f16_e32 v22, v23, v22
	v_add_f16_e32 v23, v48, v46
	v_sub_f16_e32 v44, v32, v44
	v_sub_f16_e32 v21, v12, v21
	v_add_f16_e32 v32, v51, v32
	v_add_f16_e32 v12, v52, v12
	;; [unrolled: 1-line block ×3, first 2 shown]
	v_add_f16_sdwa v16, v23, v16 dst_sel:DWORD dst_unused:UNUSED_PAD src0_sel:DWORD src1_sel:WORD_1
	v_mul_f16_e32 v42, 0x3a52, v42
	v_mul_f16_e32 v43, 0x3a52, v43
	;; [unrolled: 1-line block ×8, first 2 shown]
	v_fma_f16 v22, v22, s14, v46
	v_fma_f16 v23, v23, s14, v16
	v_fma_f16 v19, v19, s5, v42
	v_fma_f16 v45, v45, s5, v43
	v_fma_f16 v48, v49, s6, -v48
	v_fma_f16 v51, v50, s6, -v51
	;; [unrolled: 1-line block ×4, first 2 shown]
	v_fma_f16 v49, v44, s9, v52
	v_fma_f16 v50, v21, s9, v53
	v_fma_f16 v41, v41, s4, -v52
	v_fma_f16 v20, v20, s4, -v53
	;; [unrolled: 1-line block ×4, first 2 shown]
	v_add_f16_e32 v19, v19, v22
	v_add_f16_e32 v45, v45, v23
	;; [unrolled: 1-line block ×6, first 2 shown]
	v_fma_f16 v42, v32, s8, v49
	v_fma_f16 v43, v12, s8, v50
	;; [unrolled: 1-line block ×6, first 2 shown]
	v_sub_f16_e32 v44, v45, v42
	v_add_f16_e32 v49, v12, v22
	v_sub_f16_e32 v50, v23, v32
	v_sub_f16_e32 v12, v22, v12
	v_add_f16_e32 v22, v32, v23
	v_add_f16_e32 v23, v42, v45
	;; [unrolled: 1-line block ×4, first 2 shown]
	v_sub_f16_e32 v33, v33, v36
	v_sub_f16_e32 v28, v28, v37
	v_add_f16_e32 v36, v35, v40
	v_add_f16_e32 v37, v29, v34
	v_sub_f16_e32 v35, v35, v40
	v_sub_f16_e32 v29, v29, v34
	v_add_f16_e32 v34, v38, v39
	v_add_f16_e32 v40, v30, v31
	;; [unrolled: 4-line block ×3, first 2 shown]
	v_add_f16_e32 v21, v43, v19
	v_sub_f16_e32 v52, v48, v20
	v_add_f16_e32 v53, v41, v51
	v_add_f16_e32 v20, v20, v48
	v_sub_f16_e32 v41, v51, v41
	v_sub_f16_e32 v19, v19, v43
	;; [unrolled: 1-line block ×8, first 2 shown]
	v_add_f16_e32 v48, v38, v35
	v_add_f16_e32 v51, v30, v29
	v_sub_f16_e32 v54, v38, v35
	v_sub_f16_e32 v55, v30, v29
	;; [unrolled: 1-line block ×4, first 2 shown]
	v_add_f16_e32 v31, v34, v31
	v_add_f16_e32 v34, v40, v39
	v_sub_f16_e32 v38, v33, v38
	v_sub_f16_e32 v30, v28, v30
	v_add_f16_e32 v33, v48, v33
	v_add_f16_e32 v28, v51, v28
	;; [unrolled: 1-line block ×3, first 2 shown]
	v_add_f16_sdwa v40, v34, v47 dst_sel:DWORD dst_unused:UNUSED_PAD src0_sel:DWORD src1_sel:WORD_1
	v_mul_f16_e32 v32, 0x3a52, v32
	v_mul_f16_e32 v42, 0x3a52, v42
	;; [unrolled: 1-line block ×8, first 2 shown]
	v_fma_f16 v31, v31, s14, v39
	v_fma_f16 v34, v34, s14, v40
	;; [unrolled: 1-line block ×4, first 2 shown]
	v_fma_f16 v47, v43, s6, -v47
	v_fma_f16 v48, v45, s6, -v48
	;; [unrolled: 1-line block ×4, first 2 shown]
	v_fma_f16 v43, v38, s9, v51
	v_fma_f16 v45, v30, s9, v54
	v_fma_f16 v35, v35, s4, -v51
	v_fma_f16 v29, v29, s4, -v54
	;; [unrolled: 1-line block ×4, first 2 shown]
	v_add_f16_e32 v36, v36, v31
	v_add_f16_e32 v37, v37, v34
	;; [unrolled: 1-line block ×6, first 2 shown]
	v_fma_f16 v34, v33, s8, v43
	v_fma_f16 v42, v28, s8, v45
	;; [unrolled: 1-line block ×6, first 2 shown]
	v_pack_b32_f16 v16, v46, v16
	v_pack_b32_f16 v21, v21, v44
	v_sub_f16_e32 v38, v37, v34
	v_add_f16_e32 v43, v28, v31
	v_sub_f16_e32 v45, v32, v33
	v_sub_f16_e32 v28, v31, v28
	v_add_f16_e32 v31, v33, v32
	v_add_f16_e32 v33, v34, v37
	ds_write2_b32 v10, v16, v21 offset1:252
	v_pack_b32_f16 v16, v49, v50
	v_pack_b32_f16 v21, v52, v53
	v_add_u32_e32 v34, 0x7e0, v10
	ds_write2_b32 v34, v16, v21 offset1:252
	v_pack_b32_f16 v16, v20, v41
	v_pack_b32_f16 v12, v12, v22
	v_add_u32_e32 v20, 0xfc0, v10
	v_add_f16_e32 v30, v42, v36
	ds_write2_b32 v20, v16, v12 offset1:252
	v_pack_b32_f16 v12, v19, v23
	v_sub_f16_e32 v51, v47, v29
	v_add_f16_e32 v54, v35, v48
	ds_write_b32 v10, v12 offset:6048
	v_pack_b32_f16 v12, v39, v40
	v_pack_b32_f16 v16, v30, v38
	v_add_f16_e32 v29, v29, v47
	v_sub_f16_e32 v35, v48, v35
	ds_write2_b32 v27, v12, v16 offset1:252
	v_pack_b32_f16 v12, v43, v45
	v_pack_b32_f16 v16, v51, v54
	v_add_u32_e32 v19, 0x7e0, v27
	v_sub_f16_e32 v32, v36, v42
	ds_write2_b32 v19, v12, v16 offset1:252
	v_pack_b32_f16 v12, v29, v35
	v_pack_b32_f16 v16, v28, v31
	v_add_u32_e32 v19, 0xfc0, v27
	ds_write2_b32 v19, v12, v16 offset1:252
	v_pack_b32_f16 v12, v32, v33
	ds_write_b32 v27, v12 offset:6048
	s_waitcnt lgkmcnt(0)
	s_barrier
	ds_read_b32 v16, v10
	s_add_u32 s6, s12, 0x1b88
	s_addc_u32 s7, s13, 0
	v_sub_u32_e32 v19, 0, v4
                                        ; implicit-def: $vgpr21
                                        ; implicit-def: $vgpr12
                                        ; implicit-def: $vgpr20
	s_and_saveexec_b64 s[4:5], vcc
	s_xor_b64 s[4:5], exec, s[4:5]
	s_cbranch_execz .LBB0_23
; %bb.22:
	v_mov_b32_e32 v4, v17
	v_lshlrev_b64 v[20:21], 2, v[3:4]
	v_mov_b32_e32 v4, s7
	v_add_co_u32_e32 v20, vcc, s6, v20
	v_addc_co_u32_e32 v21, vcc, v4, v21, vcc
	global_load_dword v4, v[20:21], off
	ds_read_b32 v12, v19 offset:7056
	s_mov_b32 s8, 0xffff
	s_waitcnt lgkmcnt(0)
	v_pk_add_f16 v17, v16, v12 neg_lo:[0,1] neg_hi:[0,1]
	v_pk_add_f16 v12, v12, v16
	v_bfi_b32 v16, s8, v17, v12
	v_pk_mul_f16 v16, v16, 0.5 op_sel_hi:[1,0]
	v_bfi_b32 v12, s8, v12, v17
	v_pk_mul_f16 v17, v12, 0.5 op_sel_hi:[1,0]
	s_waitcnt vmcnt(0)
	v_pk_mul_f16 v20, v4, v16 op_sel:[1,0]
	v_pk_mul_f16 v4, v4, v16 op_sel_hi:[0,1]
	v_pk_fma_f16 v12, v12, 0.5, v20 op_sel_hi:[1,0,1]
	v_sub_f16_e32 v16, v17, v20
	v_sub_f16_sdwa v17, v20, v17 dst_sel:DWORD dst_unused:UNUSED_PAD src0_sel:WORD_1 src1_sel:WORD_1
	v_pk_add_f16 v20, v12, v4 op_sel:[0,1] op_sel_hi:[1,0]
	v_pk_add_f16 v21, v12, v4 op_sel:[0,1] op_sel_hi:[1,0] neg_lo:[0,1] neg_hi:[0,1]
	v_sub_f16_sdwa v12, v16, v4 dst_sel:DWORD dst_unused:UNUSED_PAD src0_sel:DWORD src1_sel:WORD_1
	v_bfi_b32 v21, s8, v20, v21
	v_sub_f16_e32 v20, v17, v4
                                        ; implicit-def: $vgpr16
.LBB0_23:
	s_or_saveexec_b64 s[4:5], s[4:5]
	v_sub_u32_e32 v4, 0, v8
	s_xor_b64 exec, exec, s[4:5]
	s_cbranch_execz .LBB0_25
; %bb.24:
	v_mov_b32_e32 v20, 0
	ds_read_u16 v8, v20 offset:3530
	s_waitcnt lgkmcnt(1)
	v_alignbit_b32 v17, s0, v16, 16
	v_sub_f16_sdwa v12, v16, v16 dst_sel:DWORD dst_unused:UNUSED_PAD src0_sel:DWORD src1_sel:WORD_1
	v_pk_add_f16 v16, v17, v16
	v_pack_b32_f16 v21, v16, 0
	s_waitcnt lgkmcnt(0)
	v_xor_b32_e32 v8, 0x8000, v8
	ds_write_b16 v20, v8 offset:3530
.LBB0_25:
	s_or_b64 exec, exec, s[4:5]
	v_mov_b32_e32 v8, 0
	s_waitcnt lgkmcnt(0)
	v_lshlrev_b64 v[16:17], 2, v[7:8]
	v_mov_b32_e32 v7, s7
	v_add_co_u32_e32 v16, vcc, s6, v16
	v_addc_co_u32_e32 v17, vcc, v7, v17, vcc
	global_load_dword v7, v[16:17], off
	v_mov_b32_e32 v16, v8
	v_lshlrev_b64 v[15:16], 2, v[15:16]
	v_mov_b32_e32 v17, s7
	v_add_co_u32_e32 v15, vcc, s6, v15
	v_addc_co_u32_e32 v16, vcc, v17, v16, vcc
	global_load_dword v16, v[15:16], off
	v_mov_b32_e32 v15, v8
	v_lshlrev_b64 v[14:15], 2, v[14:15]
	ds_write_b16 v19, v20 offset:7058
	ds_write_b32 v10, v21
	ds_write_b16 v19, v12 offset:7056
	v_mov_b32_e32 v10, s7
	v_add_co_u32_e32 v14, vcc, s6, v14
	v_addc_co_u32_e32 v15, vcc, v10, v15, vcc
	global_load_dword v15, v[14:15], off
	v_mov_b32_e32 v10, v8
	v_lshlrev_b64 v[9:10], 2, v[9:10]
	v_mov_b32_e32 v12, v8
	v_lshlrev_b64 v[11:12], 2, v[11:12]
	v_add_co_u32_e32 v9, vcc, s6, v9
	v_mov_b32_e32 v14, v8
	v_addc_co_u32_e32 v10, vcc, v17, v10, vcc
	v_mov_b32_e32 v20, s7
	v_lshlrev_b64 v[13:14], 2, v[13:14]
	v_add_co_u32_e32 v11, vcc, s6, v11
	v_addc_co_u32_e32 v12, vcc, v20, v12, vcc
	v_mov_b32_e32 v21, s7
	v_add_co_u32_e32 v13, vcc, s6, v13
	ds_read_b32 v22, v27
	ds_read_b32 v23, v19 offset:6552
	v_addc_co_u32_e32 v14, vcc, v21, v14, vcc
	global_load_dword v17, v[9:10], off
	global_load_dword v20, v[11:12], off
	;; [unrolled: 1-line block ×3, first 2 shown]
	s_mov_b32 s4, 0xffff
	s_waitcnt lgkmcnt(0)
	v_pk_add_f16 v9, v22, v23 neg_lo:[0,1] neg_hi:[0,1]
	v_pk_add_f16 v10, v22, v23
	v_bfi_b32 v11, s4, v9, v10
	v_bfi_b32 v9, s4, v10, v9
	v_pk_mul_f16 v10, v11, 0.5 op_sel_hi:[1,0]
	v_pk_mul_f16 v9, v9, 0.5 op_sel_hi:[1,0]
	v_add_u32_e32 v0, v0, v4
	s_waitcnt vmcnt(5)
	v_pk_fma_f16 v11, v7, v10, v9 op_sel:[1,0,0]
	v_pk_mul_f16 v12, v7, v10 op_sel_hi:[0,1]
	v_pk_fma_f16 v13, v7, v10, v9 op_sel:[1,0,0] neg_lo:[1,0,0] neg_hi:[1,0,0]
	v_pk_fma_f16 v7, v7, v10, v9 op_sel:[1,0,0] neg_lo:[0,0,1] neg_hi:[0,0,1]
	v_pk_add_f16 v9, v11, v12 op_sel:[0,1] op_sel_hi:[1,0]
	v_pk_add_f16 v10, v11, v12 op_sel:[0,1] op_sel_hi:[1,0] neg_lo:[0,1] neg_hi:[0,1]
	v_pk_add_f16 v11, v13, v12 op_sel:[0,1] op_sel_hi:[1,0] neg_lo:[0,1] neg_hi:[0,1]
	v_pk_add_f16 v7, v7, v12 op_sel:[0,1] op_sel_hi:[1,0] neg_lo:[0,1] neg_hi:[0,1]
	v_bfi_b32 v9, s4, v9, v10
	v_bfi_b32 v7, s4, v11, v7
	ds_write_b32 v27, v9
	ds_write_b32 v19, v7 offset:6552
	ds_read_b32 v7, v26
	ds_read_b32 v9, v19 offset:6048
	s_waitcnt lgkmcnt(0)
	v_pk_add_f16 v10, v7, v9 neg_lo:[0,1] neg_hi:[0,1]
	v_pk_add_f16 v7, v7, v9
	v_bfi_b32 v9, s4, v10, v7
	v_bfi_b32 v7, s4, v7, v10
	v_pk_mul_f16 v9, v9, 0.5 op_sel_hi:[1,0]
	v_pk_mul_f16 v7, v7, 0.5 op_sel_hi:[1,0]
	s_waitcnt vmcnt(4)
	v_pk_fma_f16 v10, v16, v9, v7 op_sel:[1,0,0]
	v_pk_mul_f16 v11, v16, v9 op_sel_hi:[0,1]
	v_pk_fma_f16 v12, v16, v9, v7 op_sel:[1,0,0] neg_lo:[1,0,0] neg_hi:[1,0,0]
	v_pk_fma_f16 v7, v16, v9, v7 op_sel:[1,0,0] neg_lo:[0,0,1] neg_hi:[0,0,1]
	v_pk_add_f16 v9, v10, v11 op_sel:[0,1] op_sel_hi:[1,0]
	v_pk_add_f16 v10, v10, v11 op_sel:[0,1] op_sel_hi:[1,0] neg_lo:[0,1] neg_hi:[0,1]
	v_pk_add_f16 v12, v12, v11 op_sel:[0,1] op_sel_hi:[1,0] neg_lo:[0,1] neg_hi:[0,1]
	v_pk_add_f16 v7, v7, v11 op_sel:[0,1] op_sel_hi:[1,0] neg_lo:[0,1] neg_hi:[0,1]
	v_bfi_b32 v9, s4, v9, v10
	v_bfi_b32 v7, s4, v12, v7
	ds_write_b32 v26, v9
	ds_write_b32 v19, v7 offset:6048
	ds_read_b32 v7, v25
	ds_read_b32 v9, v19 offset:5544
	s_waitcnt lgkmcnt(0)
	v_pk_add_f16 v10, v7, v9 neg_lo:[0,1] neg_hi:[0,1]
	v_pk_add_f16 v7, v7, v9
	v_bfi_b32 v9, s4, v10, v7
	v_bfi_b32 v7, s4, v7, v10
	v_pk_mul_f16 v9, v9, 0.5 op_sel_hi:[1,0]
	v_pk_mul_f16 v7, v7, 0.5 op_sel_hi:[1,0]
	;; [unrolled: 22-line block ×3, first 2 shown]
	s_waitcnt vmcnt(2)
	v_pk_fma_f16 v10, v17, v9, v7 op_sel:[1,0,0]
	v_pk_mul_f16 v11, v17, v9 op_sel_hi:[0,1]
	v_pk_add_f16 v12, v10, v11 op_sel:[0,1] op_sel_hi:[1,0]
	v_pk_add_f16 v10, v10, v11 op_sel:[0,1] op_sel_hi:[1,0] neg_lo:[0,1] neg_hi:[0,1]
	v_bfi_b32 v10, s4, v12, v10
	v_pk_fma_f16 v12, v17, v9, v7 op_sel:[1,0,0] neg_lo:[1,0,0] neg_hi:[1,0,0]
	v_pk_fma_f16 v7, v17, v9, v7 op_sel:[1,0,0] neg_lo:[0,0,1] neg_hi:[0,0,1]
	v_pk_add_f16 v12, v12, v11 op_sel:[0,1] op_sel_hi:[1,0] neg_lo:[0,1] neg_hi:[0,1]
	v_pk_add_f16 v7, v7, v11 op_sel:[0,1] op_sel_hi:[1,0] neg_lo:[0,1] neg_hi:[0,1]
	v_bfi_b32 v7, s4, v12, v7
	ds_write_b32 v24, v10
	ds_write_b32 v19, v7 offset:5040
	ds_read_b32 v4, v0
	ds_read_b32 v7, v19 offset:4536
	s_waitcnt lgkmcnt(0)
	v_pk_add_f16 v9, v4, v7 neg_lo:[0,1] neg_hi:[0,1]
	v_pk_add_f16 v4, v4, v7
	v_bfi_b32 v7, s4, v9, v4
	v_bfi_b32 v4, s4, v4, v9
	v_pk_mul_f16 v7, v7, 0.5 op_sel_hi:[1,0]
	v_pk_mul_f16 v4, v4, 0.5 op_sel_hi:[1,0]
	s_waitcnt vmcnt(1)
	v_pk_fma_f16 v9, v20, v7, v4 op_sel:[1,0,0]
	v_pk_mul_f16 v10, v20, v7 op_sel_hi:[0,1]
	v_pk_add_f16 v11, v9, v10 op_sel:[0,1] op_sel_hi:[1,0]
	v_pk_add_f16 v9, v9, v10 op_sel:[0,1] op_sel_hi:[1,0] neg_lo:[0,1] neg_hi:[0,1]
	v_bfi_b32 v9, s4, v11, v9
	v_pk_fma_f16 v11, v20, v7, v4 op_sel:[1,0,0] neg_lo:[1,0,0] neg_hi:[1,0,0]
	v_pk_fma_f16 v4, v20, v7, v4 op_sel:[1,0,0] neg_lo:[0,0,1] neg_hi:[0,0,1]
	v_pk_add_f16 v11, v11, v10 op_sel:[0,1] op_sel_hi:[1,0] neg_lo:[0,1] neg_hi:[0,1]
	v_pk_add_f16 v4, v4, v10 op_sel:[0,1] op_sel_hi:[1,0] neg_lo:[0,1] neg_hi:[0,1]
	ds_write_b32 v0, v9
	v_bfi_b32 v0, s4, v11, v4
	ds_write_b32 v19, v0 offset:4536
	ds_read_b32 v0, v18
	ds_read_b32 v4, v19 offset:4032
	s_waitcnt lgkmcnt(0)
	v_pk_add_f16 v7, v0, v4 neg_lo:[0,1] neg_hi:[0,1]
	v_pk_add_f16 v0, v0, v4
	v_bfi_b32 v4, s4, v7, v0
	v_bfi_b32 v0, s4, v0, v7
	v_pk_mul_f16 v4, v4, 0.5 op_sel_hi:[1,0]
	v_pk_mul_f16 v0, v0, 0.5 op_sel_hi:[1,0]
	s_waitcnt vmcnt(0)
	v_pk_fma_f16 v7, v21, v4, v0 op_sel:[1,0,0]
	v_pk_mul_f16 v9, v21, v4 op_sel_hi:[0,1]
	v_pk_add_f16 v10, v7, v9 op_sel:[0,1] op_sel_hi:[1,0]
	v_pk_add_f16 v7, v7, v9 op_sel:[0,1] op_sel_hi:[1,0] neg_lo:[0,1] neg_hi:[0,1]
	v_bfi_b32 v7, s4, v10, v7
	v_pk_fma_f16 v10, v21, v4, v0 op_sel:[1,0,0] neg_lo:[1,0,0] neg_hi:[1,0,0]
	v_pk_fma_f16 v0, v21, v4, v0 op_sel:[1,0,0] neg_lo:[0,0,1] neg_hi:[0,0,1]
	v_pk_add_f16 v10, v10, v9 op_sel:[0,1] op_sel_hi:[1,0] neg_lo:[0,1] neg_hi:[0,1]
	v_pk_add_f16 v0, v0, v9 op_sel:[0,1] op_sel_hi:[1,0] neg_lo:[0,1] neg_hi:[0,1]
	v_bfi_b32 v0, s4, v10, v0
	ds_write_b32 v18, v7
	ds_write_b32 v19, v0 offset:4032
	s_waitcnt lgkmcnt(0)
	s_barrier
	s_and_saveexec_b64 s[4:5], s[0:1]
	s_cbranch_execz .LBB0_28
; %bb.26:
	v_mul_lo_u32 v0, s3, v5
	v_mul_lo_u32 v4, s2, v6
	v_mad_u64_u32 v[5:6], s[0:1], s2, v5, 0
	v_lshl_add_u32 v11, v3, 2, 0
	v_lshlrev_b64 v[1:2], 2, v[1:2]
	v_add3_u32 v6, v6, v4, v0
	v_lshlrev_b64 v[5:6], 2, v[5:6]
	v_mov_b32_e32 v0, s11
	v_add_co_u32_e32 v5, vcc, s10, v5
	v_mov_b32_e32 v4, v8
	ds_read2_b32 v[9:10], v11 offset1:126
	v_addc_co_u32_e32 v0, vcc, v0, v6, vcc
	v_add_co_u32_e32 v1, vcc, v5, v1
	v_lshlrev_b64 v[4:5], 2, v[3:4]
	v_addc_co_u32_e32 v0, vcc, v0, v2, vcc
	v_add_co_u32_e32 v4, vcc, v1, v4
	v_addc_co_u32_e32 v5, vcc, v0, v5, vcc
	v_add_u32_e32 v7, 0x7e, v3
	s_waitcnt lgkmcnt(0)
	global_store_dword v[4:5], v9, off
	v_lshlrev_b64 v[4:5], 2, v[7:8]
	v_add_u32_e32 v2, 0x200, v11
	v_add_co_u32_e32 v4, vcc, v1, v4
	v_addc_co_u32_e32 v5, vcc, v0, v5, vcc
	global_store_dword v[4:5], v10, off
	v_add_u32_e32 v7, 0xfc, v3
	ds_read2_b32 v[4:5], v2 offset0:124 offset1:250
	v_lshlrev_b64 v[6:7], 2, v[7:8]
	v_add_u32_e32 v2, 0x600, v11
	v_add_co_u32_e32 v6, vcc, v1, v6
	v_addc_co_u32_e32 v7, vcc, v0, v7, vcc
	s_waitcnt lgkmcnt(0)
	global_store_dword v[6:7], v4, off
	v_add_u32_e32 v7, 0x17a, v3
	v_lshlrev_b64 v[6:7], 2, v[7:8]
	s_movk_i32 s0, 0x7d
	v_add_co_u32_e32 v6, vcc, v1, v6
	v_addc_co_u32_e32 v7, vcc, v0, v7, vcc
	global_store_dword v[6:7], v5, off
	v_add_u32_e32 v7, 0x1f8, v3
	ds_read2_b32 v[4:5], v2 offset0:120 offset1:246
	v_lshlrev_b64 v[6:7], 2, v[7:8]
	v_add_u32_e32 v2, 0xa00, v11
	v_add_co_u32_e32 v6, vcc, v1, v6
	v_addc_co_u32_e32 v7, vcc, v0, v7, vcc
	s_waitcnt lgkmcnt(0)
	global_store_dword v[6:7], v4, off
	v_add_u32_e32 v7, 0x276, v3
	v_lshlrev_b64 v[6:7], 2, v[7:8]
	v_add_co_u32_e32 v6, vcc, v1, v6
	v_addc_co_u32_e32 v7, vcc, v0, v7, vcc
	global_store_dword v[6:7], v5, off
	v_add_u32_e32 v7, 0x2f4, v3
	ds_read2_b32 v[4:5], v2 offset0:116 offset1:242
	v_lshlrev_b64 v[6:7], 2, v[7:8]
	v_add_u32_e32 v2, 0xe00, v11
	v_add_co_u32_e32 v6, vcc, v1, v6
	v_addc_co_u32_e32 v7, vcc, v0, v7, vcc
	s_waitcnt lgkmcnt(0)
	global_store_dword v[6:7], v4, off
	v_add_u32_e32 v7, 0x372, v3
	v_lshlrev_b64 v[6:7], 2, v[7:8]
	v_add_co_u32_e32 v6, vcc, v1, v6
	v_addc_co_u32_e32 v7, vcc, v0, v7, vcc
	global_store_dword v[6:7], v5, off
	v_add_u32_e32 v7, 0x3f0, v3
	ds_read2_b32 v[4:5], v2 offset0:112 offset1:238
	v_lshlrev_b64 v[6:7], 2, v[7:8]
	v_add_u32_e32 v2, 0x1200, v11
	v_add_co_u32_e32 v6, vcc, v1, v6
	v_addc_co_u32_e32 v7, vcc, v0, v7, vcc
	s_waitcnt lgkmcnt(0)
	global_store_dword v[6:7], v4, off
	v_add_u32_e32 v7, 0x46e, v3
	v_lshlrev_b64 v[6:7], 2, v[7:8]
	v_add_co_u32_e32 v6, vcc, v1, v6
	v_addc_co_u32_e32 v7, vcc, v0, v7, vcc
	global_store_dword v[6:7], v5, off
	v_add_u32_e32 v7, 0x4ec, v3
	ds_read2_b32 v[4:5], v2 offset0:108 offset1:234
	v_lshlrev_b64 v[6:7], 2, v[7:8]
	v_add_u32_e32 v2, 0x1600, v11
	v_add_co_u32_e32 v6, vcc, v1, v6
	v_addc_co_u32_e32 v7, vcc, v0, v7, vcc
	s_waitcnt lgkmcnt(0)
	global_store_dword v[6:7], v4, off
	v_add_u32_e32 v7, 0x56a, v3
	v_lshlrev_b64 v[6:7], 2, v[7:8]
	v_add_co_u32_e32 v6, vcc, v1, v6
	v_addc_co_u32_e32 v7, vcc, v0, v7, vcc
	global_store_dword v[6:7], v5, off
	v_add_u32_e32 v7, 0x5e8, v3
	ds_read2_b32 v[4:5], v2 offset0:104 offset1:230
	v_lshlrev_b64 v[6:7], 2, v[7:8]
	v_add_co_u32_e32 v6, vcc, v1, v6
	v_addc_co_u32_e32 v7, vcc, v0, v7, vcc
	s_waitcnt lgkmcnt(0)
	global_store_dword v[6:7], v4, off
	v_add_u32_e32 v7, 0x666, v3
	v_lshlrev_b64 v[6:7], 2, v[7:8]
	v_add_co_u32_e32 v6, vcc, v1, v6
	v_addc_co_u32_e32 v7, vcc, v0, v7, vcc
	v_cmp_eq_u32_e32 vcc, s0, v3
	global_store_dword v[6:7], v5, off
	s_and_b64 exec, exec, vcc
	s_cbranch_execz .LBB0_28
; %bb.27:
	v_mov_b32_e32 v2, 0
	ds_read_b32 v3, v2 offset:7056
	v_add_co_u32_e32 v1, vcc, 0x1000, v1
	v_addc_co_u32_e32 v2, vcc, 0, v0, vcc
	s_waitcnt lgkmcnt(0)
	global_store_dword v[1:2], v3, off offset:2960
.LBB0_28:
	s_endpgm
	.section	.rodata,"a",@progbits
	.p2align	6, 0x0
	.amdhsa_kernel fft_rtc_back_len1764_factors_2_2_3_3_7_7_wgs_126_tpt_126_halfLds_half_op_CI_CI_unitstride_sbrr_R2C_dirReg
		.amdhsa_group_segment_fixed_size 0
		.amdhsa_private_segment_fixed_size 0
		.amdhsa_kernarg_size 104
		.amdhsa_user_sgpr_count 6
		.amdhsa_user_sgpr_private_segment_buffer 1
		.amdhsa_user_sgpr_dispatch_ptr 0
		.amdhsa_user_sgpr_queue_ptr 0
		.amdhsa_user_sgpr_kernarg_segment_ptr 1
		.amdhsa_user_sgpr_dispatch_id 0
		.amdhsa_user_sgpr_flat_scratch_init 0
		.amdhsa_user_sgpr_private_segment_size 0
		.amdhsa_uses_dynamic_stack 0
		.amdhsa_system_sgpr_private_segment_wavefront_offset 0
		.amdhsa_system_sgpr_workgroup_id_x 1
		.amdhsa_system_sgpr_workgroup_id_y 0
		.amdhsa_system_sgpr_workgroup_id_z 0
		.amdhsa_system_sgpr_workgroup_info 0
		.amdhsa_system_vgpr_workitem_id 0
		.amdhsa_next_free_vgpr 63
		.amdhsa_next_free_sgpr 28
		.amdhsa_reserve_vcc 1
		.amdhsa_reserve_flat_scratch 0
		.amdhsa_float_round_mode_32 0
		.amdhsa_float_round_mode_16_64 0
		.amdhsa_float_denorm_mode_32 3
		.amdhsa_float_denorm_mode_16_64 3
		.amdhsa_dx10_clamp 1
		.amdhsa_ieee_mode 1
		.amdhsa_fp16_overflow 0
		.amdhsa_exception_fp_ieee_invalid_op 0
		.amdhsa_exception_fp_denorm_src 0
		.amdhsa_exception_fp_ieee_div_zero 0
		.amdhsa_exception_fp_ieee_overflow 0
		.amdhsa_exception_fp_ieee_underflow 0
		.amdhsa_exception_fp_ieee_inexact 0
		.amdhsa_exception_int_div_zero 0
	.end_amdhsa_kernel
	.text
.Lfunc_end0:
	.size	fft_rtc_back_len1764_factors_2_2_3_3_7_7_wgs_126_tpt_126_halfLds_half_op_CI_CI_unitstride_sbrr_R2C_dirReg, .Lfunc_end0-fft_rtc_back_len1764_factors_2_2_3_3_7_7_wgs_126_tpt_126_halfLds_half_op_CI_CI_unitstride_sbrr_R2C_dirReg
                                        ; -- End function
	.section	.AMDGPU.csdata,"",@progbits
; Kernel info:
; codeLenInByte = 11448
; NumSgprs: 32
; NumVgprs: 63
; ScratchSize: 0
; MemoryBound: 0
; FloatMode: 240
; IeeeMode: 1
; LDSByteSize: 0 bytes/workgroup (compile time only)
; SGPRBlocks: 3
; VGPRBlocks: 15
; NumSGPRsForWavesPerEU: 32
; NumVGPRsForWavesPerEU: 63
; Occupancy: 4
; WaveLimiterHint : 1
; COMPUTE_PGM_RSRC2:SCRATCH_EN: 0
; COMPUTE_PGM_RSRC2:USER_SGPR: 6
; COMPUTE_PGM_RSRC2:TRAP_HANDLER: 0
; COMPUTE_PGM_RSRC2:TGID_X_EN: 1
; COMPUTE_PGM_RSRC2:TGID_Y_EN: 0
; COMPUTE_PGM_RSRC2:TGID_Z_EN: 0
; COMPUTE_PGM_RSRC2:TIDIG_COMP_CNT: 0
	.type	__hip_cuid_ec58d9b791e331e7,@object ; @__hip_cuid_ec58d9b791e331e7
	.section	.bss,"aw",@nobits
	.globl	__hip_cuid_ec58d9b791e331e7
__hip_cuid_ec58d9b791e331e7:
	.byte	0                               ; 0x0
	.size	__hip_cuid_ec58d9b791e331e7, 1

	.ident	"AMD clang version 19.0.0git (https://github.com/RadeonOpenCompute/llvm-project roc-6.4.0 25133 c7fe45cf4b819c5991fe208aaa96edf142730f1d)"
	.section	".note.GNU-stack","",@progbits
	.addrsig
	.addrsig_sym __hip_cuid_ec58d9b791e331e7
	.amdgpu_metadata
---
amdhsa.kernels:
  - .args:
      - .actual_access:  read_only
        .address_space:  global
        .offset:         0
        .size:           8
        .value_kind:     global_buffer
      - .offset:         8
        .size:           8
        .value_kind:     by_value
      - .actual_access:  read_only
        .address_space:  global
        .offset:         16
        .size:           8
        .value_kind:     global_buffer
      - .actual_access:  read_only
        .address_space:  global
        .offset:         24
        .size:           8
        .value_kind:     global_buffer
      - .actual_access:  read_only
        .address_space:  global
        .offset:         32
        .size:           8
        .value_kind:     global_buffer
      - .offset:         40
        .size:           8
        .value_kind:     by_value
      - .actual_access:  read_only
        .address_space:  global
        .offset:         48
        .size:           8
        .value_kind:     global_buffer
      - .actual_access:  read_only
        .address_space:  global
        .offset:         56
        .size:           8
        .value_kind:     global_buffer
      - .offset:         64
        .size:           4
        .value_kind:     by_value
      - .actual_access:  read_only
        .address_space:  global
        .offset:         72
        .size:           8
        .value_kind:     global_buffer
      - .actual_access:  read_only
        .address_space:  global
        .offset:         80
        .size:           8
        .value_kind:     global_buffer
      - .actual_access:  read_only
        .address_space:  global
        .offset:         88
        .size:           8
        .value_kind:     global_buffer
      - .actual_access:  write_only
        .address_space:  global
        .offset:         96
        .size:           8
        .value_kind:     global_buffer
    .group_segment_fixed_size: 0
    .kernarg_segment_align: 8
    .kernarg_segment_size: 104
    .language:       OpenCL C
    .language_version:
      - 2
      - 0
    .max_flat_workgroup_size: 126
    .name:           fft_rtc_back_len1764_factors_2_2_3_3_7_7_wgs_126_tpt_126_halfLds_half_op_CI_CI_unitstride_sbrr_R2C_dirReg
    .private_segment_fixed_size: 0
    .sgpr_count:     32
    .sgpr_spill_count: 0
    .symbol:         fft_rtc_back_len1764_factors_2_2_3_3_7_7_wgs_126_tpt_126_halfLds_half_op_CI_CI_unitstride_sbrr_R2C_dirReg.kd
    .uniform_work_group_size: 1
    .uses_dynamic_stack: false
    .vgpr_count:     63
    .vgpr_spill_count: 0
    .wavefront_size: 64
amdhsa.target:   amdgcn-amd-amdhsa--gfx906
amdhsa.version:
  - 1
  - 2
...

	.end_amdgpu_metadata
